;; amdgpu-corpus repo=zjin-lcf/HeCBench kind=compiled arch=gfx1250 opt=O3
	.amdgcn_target "amdgcn-amd-amdhsa--gfx1250"
	.amdhsa_code_object_version 6
	.text
	.protected	_Z13check_connectPK15HIP_vector_typeIfLj3EEPjii ; -- Begin function _Z13check_connectPK15HIP_vector_typeIfLj3EEPjii
	.globl	_Z13check_connectPK15HIP_vector_typeIfLj3EEPjii
	.p2align	8
	.type	_Z13check_connectPK15HIP_vector_typeIfLj3EEPjii,@function
_Z13check_connectPK15HIP_vector_typeIfLj3EEPjii: ; @_Z13check_connectPK15HIP_vector_typeIfLj3EEPjii
; %bb.0:
	s_clause 0x1
	s_load_b64 s[8:9], s[0:1], 0x10
	s_load_b32 s2, s[0:1], 0x24
	s_bfe_u32 s4, ttmp6, 0x4000c
	s_getreg_b32 s5, hwreg(HW_REG_IB_STS2, 6, 4)
	s_add_co_i32 s4, s4, 1
	s_load_b64 s[6:7], s[0:1], 0x0
	s_mul_i32 s4, ttmp9, s4
	v_mov_b64_e32 v[22:23], 0x3e9916873f1645a2
	s_mov_b32 s10, 0x437f0000
	s_wait_kmcnt 0x0
	s_cvt_f32_u32 s3, s8
	s_and_b32 s2, s2, 0xffff
	s_delay_alu instid0(SALU_CYCLE_2) | instskip(SKIP_1) | instid1(SALU_CYCLE_1)
	v_rcp_iflag_f32_e32 v1, s3
	s_and_b32 s3, ttmp6, 15
	s_add_co_i32 s3, s3, s4
	s_cmp_eq_u32 s5, 0
	s_cselect_b32 s3, ttmp9, s3
	v_nop
	s_delay_alu instid0(TRANS32_DEP_1) | instskip(SKIP_1) | instid1(SALU_CYCLE_1)
	v_readfirstlane_b32 s4, v1
	s_and_b32 s3, s3, 0xffffff
	v_mad_u32 v4, s3, s2, v0
	s_sub_co_i32 s3, 0, s8
	s_mul_f32 s4, s4, 0x4f7ffffe
	s_delay_alu instid0(SALU_CYCLE_3) | instskip(SKIP_1) | instid1(SALU_CYCLE_2)
	s_cvt_u32_f32 s2, s4
	s_mov_b32 s4, 0x3de978d5
	s_mul_i32 s3, s3, s2
	s_delay_alu instid0(VALU_DEP_1) | instskip(SKIP_1) | instid1(SALU_CYCLE_1)
	v_mad_nc_u64_u32 v[18:19], v4, 12, s[6:7]
	s_mul_hi_u32 s3, s2, s3
	s_add_co_i32 s2, s2, s3
	s_delay_alu instid0(SALU_CYCLE_1) | instskip(NEXT) | instid1(VALU_DEP_1)
	v_mul_hi_u32 v0, v4, s2
	v_mul_lo_u32 v1, v0, s8
	s_delay_alu instid0(VALU_DEP_1) | instskip(NEXT) | instid1(VALU_DEP_1)
	v_dual_add_nc_u32 v2, 1, v0 :: v_dual_sub_nc_u32 v1, v4, v1
	v_subrev_nc_u32_e32 v3, s8, v1
	v_cmp_le_u32_e32 vcc_lo, s8, v1
	s_delay_alu instid0(VALU_DEP_2) | instskip(NEXT) | instid1(VALU_DEP_1)
	v_dual_cndmask_b32 v0, v0, v2 :: v_dual_cndmask_b32 v1, v1, v3
	v_add_nc_u32_e32 v2, 1, v0
	s_delay_alu instid0(VALU_DEP_2) | instskip(NEXT) | instid1(VALU_DEP_2)
	v_cmp_le_u32_e32 vcc_lo, s8, v1
	v_cndmask_b32_e32 v11, v0, v2, vcc_lo
	s_delay_alu instid0(VALU_DEP_1) | instskip(NEXT) | instid1(VALU_DEP_1)
	v_mul_lo_u32 v3, v11, s8
	v_sub_nc_u32_e32 v7, v4, v3
	s_delay_alu instid0(VALU_DEP_1) | instskip(SKIP_3) | instid1(SALU_CYCLE_1)
	v_cmp_lt_i32_e32 vcc_lo, 0, v7
	v_add_nc_u32_e32 v8, -1, v7
	v_cmp_lt_i32_e64 s2, 0, v11
	s_and_b32 s3, s2, vcc_lo
	v_dual_add_nc_u32 v16, -1, v11 :: v_dual_cndmask_b32 v1, v7, v8, s3
	s_delay_alu instid0(VALU_DEP_1) | instskip(NEXT) | instid1(VALU_DEP_1)
	v_cndmask_b32_e64 v0, v11, v16, s3
	v_mad_u32 v5, v0, s8, v1
	s_clause 0x1
	global_load_b96 v[0:2], v[18:19], off
	global_load_b96 v[12:14], v5, s[6:7] scale_offset
	s_wait_xcnt 0x1
	v_mov_b64_e32 v[18:19], 0x3f1645a23e991687
	s_wait_loadcnt 0x0
	v_dual_mov_b32 v20, v1 :: v_dual_mov_b32 v1, v13
	v_dual_mov_b32 v21, v12 :: v_dual_mov_b32 v24, v2
	v_mov_b32_e32 v25, v14
	v_mov_b64_e32 v[12:13], 0x3f36872b3f10624e
	s_delay_alu instid0(VALU_DEP_4) | instskip(SKIP_1) | instid1(VALU_DEP_2)
	v_pk_mul_f32 v[18:19], v[0:1], v[18:19]
	v_mov_b32_e32 v1, v14
	v_pk_fma_f32 v[18:19], v[20:21], v[22:23], v[18:19]
	v_mov_b32_e32 v20, v2
	s_delay_alu instid0(VALU_DEP_2) | instskip(SKIP_1) | instid1(VALU_DEP_2)
	v_pk_fma_f32 v[14:15], v[24:25], s[4:5], v[18:19] op_sel_hi:[1,0,1]
	v_mov_b64_e32 v[18:19], 0x3f10624e3f36872b
	v_pk_add_f32 v[0:1], v[0:1], v[14:15] neg_lo:[0,1] neg_hi:[0,1]
	v_cmp_nlt_f32_e64 s4, 1.0, v15
	v_pk_add_f32 v[20:21], v[20:21], v[14:15] neg_lo:[0,1] neg_hi:[0,1]
	s_delay_alu instid0(VALU_DEP_3) | instskip(NEXT) | instid1(VALU_DEP_3)
	v_pk_fma_f32 v[0:1], v[0:1], v[18:19], 0.5 op_sel_hi:[1,1,0]
	v_cndmask_b32_e64 v19, 1.0, v15, s4
	v_cmp_nlt_f32_e64 s4, 1.0, v14
	s_delay_alu instid0(VALU_DEP_4) | instskip(NEXT) | instid1(VALU_DEP_2)
	v_pk_fma_f32 v[12:13], v[20:21], v[12:13], 0.5 op_sel_hi:[1,1,0]
	v_cndmask_b32_e64 v18, 1.0, v14, s4
	v_cmp_nlt_f32_e64 s4, 1.0, v1
	s_delay_alu instid0(VALU_DEP_2) | instskip(NEXT) | instid1(VALU_DEP_2)
	v_pk_mul_f32 v[18:19], v[18:19], s[10:11] op_sel_hi:[1,0]
	v_cndmask_b32_e64 v21, 1.0, v1, s4
	v_cmp_nlt_f32_e64 s4, 1.0, v0
	s_delay_alu instid0(VALU_DEP_1) | instskip(SKIP_1) | instid1(VALU_DEP_2)
	v_cndmask_b32_e64 v20, 1.0, v0, s4
	v_cmp_nlt_f32_e64 s4, 1.0, v13
	v_pk_mul_f32 v[20:21], v[20:21], s[10:11] op_sel_hi:[1,0]
	s_delay_alu instid0(VALU_DEP_2) | instskip(SKIP_1) | instid1(VALU_DEP_1)
	v_cndmask_b32_e64 v23, 1.0, v13, s4
	v_cmp_nlt_f32_e64 s4, 1.0, v12
	v_cndmask_b32_e64 v22, 1.0, v12, s4
	v_cmp_ngt_f32_e64 s4, 0, v1
	s_delay_alu instid0(VALU_DEP_2) | instskip(NEXT) | instid1(VALU_DEP_2)
	v_pk_mul_f32 v[22:23], v[22:23], s[10:11] op_sel_hi:[1,0]
	v_cndmask_b32_e64 v1, 0, v21, s4
	v_cmp_ngt_f32_e64 s4, 0, v0
	s_delay_alu instid0(VALU_DEP_1) | instskip(SKIP_1) | instid1(VALU_DEP_4)
	v_cndmask_b32_e64 v0, 0, v20, s4
	v_cmp_ngt_f32_e64 s4, 0, v13
	v_cvt_u32_f32_e32 v1, v1
	s_delay_alu instid0(VALU_DEP_3) | instskip(NEXT) | instid1(VALU_DEP_3)
	v_cvt_u32_f32_e32 v0, v0
	v_cndmask_b32_e64 v2, 0, v23, s4
	v_cmp_ngt_f32_e64 s4, 0, v12
	s_delay_alu instid0(VALU_DEP_3) | instskip(NEXT) | instid1(VALU_DEP_2)
	v_dual_lshlrev_b32 v10, 16, v1 :: v_dual_lshlrev_b32 v0, 8, v0
	v_cndmask_b32_e64 v5, 0, v22, s4
	v_cmp_ngt_f32_e64 s4, 0, v14
	v_cvt_u32_f32_e32 v2, v2
	s_delay_alu instid0(VALU_DEP_3) | instskip(NEXT) | instid1(VALU_DEP_3)
	v_cvt_u32_f32_e32 v5, v5
	v_cndmask_b32_e64 v6, 0, v18, s4
	v_cmp_ngt_f32_e64 s4, 0, v15
	s_delay_alu instid0(VALU_DEP_3) | instskip(NEXT) | instid1(VALU_DEP_2)
	v_dual_lshlrev_b32 v12, 8, v2 :: v_dual_lshlrev_b32 v5, 16, v5
	v_cndmask_b32_e64 v9, 0, v19, s4
	s_delay_alu instid0(VALU_DEP_4) | instskip(NEXT) | instid1(VALU_DEP_3)
	v_cvt_u32_f32_e32 v2, v6
	v_or_b32_e32 v6, v10, v12
	s_delay_alu instid0(VALU_DEP_3) | instskip(SKIP_1) | instid1(VALU_DEP_4)
	v_cvt_u32_f32_e32 v1, v9
	v_dual_mov_b32 v5, 0 :: v_dual_bitop2_b32 v9, v0, v5 bitop3:0x54
	v_and_b32_e32 v12, 0xff, v2
	s_delay_alu instid0(VALU_DEP_2) | instskip(NEXT) | instid1(VALU_DEP_3)
	v_dual_mov_b32 v10, v5 :: v_dual_bitop2_b32 v0, v6, v1 bitop3:0x54
	v_or_b32_e32 v9, v9, v2
	s_and_saveexec_b32 s5, s3
	s_cbranch_execz .LBB0_4
; %bb.1:
	v_and_b32_e32 v1, 0xff, v1
	s_mov_b32 s10, exec_lo
	s_delay_alu instid0(VALU_DEP_1) | instskip(NEXT) | instid1(VALU_DEP_1)
	v_dual_mov_b32 v10, 0 :: v_dual_sub_nc_u32 v1, v12, v1
	v_sub_nc_u32_e32 v2, 0, v1
	s_delay_alu instid0(VALU_DEP_1) | instskip(NEXT) | instid1(VALU_DEP_1)
	v_max_i32_e32 v1, v1, v2
	v_cmpx_gt_u32_e32 49, v1
	s_cbranch_execz .LBB0_3
; %bb.2:
	v_dual_lshrrev_b32 v1, 16, v0 :: v_dual_lshrrev_b32 v2, 16, v9
	v_bfe_u32 v0, v0, 8, 8
	v_bfe_u32 v6, v9, 8, 8
	s_delay_alu instid0(VALU_DEP_3) | instskip(NEXT) | instid1(VALU_DEP_4)
	v_and_b32_e32 v1, 0xff, v1
	v_and_b32_e32 v2, 0xff, v2
	s_delay_alu instid0(VALU_DEP_1) | instskip(NEXT) | instid1(VALU_DEP_1)
	v_sub_nc_u32_e32 v1, v2, v1
	v_dual_sub_nc_u32 v0, v6, v0 :: v_dual_sub_nc_u32 v6, 0, v1
	s_delay_alu instid0(VALU_DEP_1) | instskip(NEXT) | instid1(VALU_DEP_1)
	v_dual_sub_nc_u32 v2, 0, v0 :: v_dual_max_i32 v1, v1, v6
	v_max_i32_e32 v0, v0, v2
	s_delay_alu instid0(VALU_DEP_2) | instskip(NEXT) | instid1(VALU_DEP_2)
	v_cmp_gt_u32_e64 s4, 7, v1
	v_cmp_gt_u32_e64 s3, 8, v0
	s_and_b32 s3, s3, s4
	s_delay_alu instid0(SALU_CYCLE_1)
	v_cndmask_b32_e64 v10, 0, 1, s3
.LBB0_3:
	s_or_b32 exec_lo, exec_lo, s10
.LBB0_4:
	s_delay_alu instid0(SALU_CYCLE_1)
	s_or_b32 exec_lo, exec_lo, s5
	v_mov_b32_e32 v13, 0
	s_and_saveexec_b32 s5, s2
	s_cbranch_execz .LBB0_8
; %bb.5:
	v_cndmask_b32_e64 v0, v11, v16, s2
	v_mov_b64_e32 v[14:15], 0x3de978d53f1645a2
	s_mov_b32 s10, exec_lo
	s_delay_alu instid0(VALU_DEP_2) | instskip(SKIP_3) | instid1(VALU_DEP_1)
	v_mad_u32 v0, v0, s8, v7
	global_load_b96 v[0:2], v0, s[6:7] scale_offset
	s_wait_loadcnt 0x0
	v_dual_mov_b32 v18, v1 :: v_dual_mov_b32 v19, v2
	v_pk_mul_f32 v[14:15], v[18:19], v[14:15]
	s_delay_alu instid0(VALU_DEP_1) | instskip(NEXT) | instid1(VALU_DEP_1)
	v_fmamk_f32 v1, v0, 0x3e991687, v14
	v_add_f32_e32 v6, v15, v1
	s_delay_alu instid0(VALU_DEP_1) | instskip(NEXT) | instid1(VALU_DEP_1)
	v_cmp_nlt_f32_e64 s3, 1.0, v6
	v_cndmask_b32_e64 v1, 1.0, v6, s3
	v_cmp_ngt_f32_e64 s3, 0, v6
	s_delay_alu instid0(VALU_DEP_2) | instskip(NEXT) | instid1(VALU_DEP_1)
	v_mul_f32_e32 v1, 0x437f0000, v1
	v_cndmask_b32_e64 v1, 0, v1, s3
	s_delay_alu instid0(VALU_DEP_1) | instskip(NEXT) | instid1(VALU_DEP_1)
	v_cvt_u32_f32_e32 v1, v1
	v_and_b32_e32 v13, 0xff, v1
	s_delay_alu instid0(VALU_DEP_1) | instskip(NEXT) | instid1(VALU_DEP_1)
	v_sub_nc_u32_e32 v13, v12, v13
	v_sub_nc_u32_e32 v14, 0, v13
	s_delay_alu instid0(VALU_DEP_1) | instskip(NEXT) | instid1(VALU_DEP_1)
	v_dual_mov_b32 v13, 0 :: v_dual_max_i32 v14, v13, v14
	v_cmpx_gt_u32_e32 49, v14
	s_cbranch_execz .LBB0_7
; %bb.6:
	v_dual_mov_b32 v14, v2 :: v_dual_mov_b32 v15, v0
	v_mov_b64_e32 v[18:19], 0x3f36872b3f10624e
	s_delay_alu instid0(VALU_DEP_2) | instskip(SKIP_1) | instid1(VALU_DEP_2)
	v_pk_add_f32 v[14:15], v[14:15], v[6:7] op_sel_hi:[1,0] neg_lo:[0,1] neg_hi:[0,1]
	v_bfe_u32 v6, v9, 8, 8
	v_pk_fma_f32 v[14:15], v[14:15], v[18:19], 0.5 op_sel_hi:[1,1,0]
	s_delay_alu instid0(VALU_DEP_1) | instskip(NEXT) | instid1(VALU_DEP_1)
	v_cmp_nlt_f32_e64 s3, 1.0, v14
	v_cndmask_b32_e64 v0, 1.0, v14, s3
	s_delay_alu instid0(VALU_DEP_3) | instskip(NEXT) | instid1(VALU_DEP_1)
	v_cmp_nlt_f32_e64 s3, 1.0, v15
	v_cndmask_b32_e64 v2, 1.0, v15, s3
	s_delay_alu instid0(VALU_DEP_3) | instskip(SKIP_1) | instid1(VALU_DEP_3)
	v_mul_f32_e32 v0, 0x437f0000, v0
	v_cmp_ngt_f32_e64 s3, 0, v14
	v_mul_f32_e32 v2, 0x437f0000, v2
	s_delay_alu instid0(VALU_DEP_3) | instskip(NEXT) | instid1(VALU_DEP_2)
	v_cvt_u32_f32_e32 v0, v0
	v_cvt_u32_f32_e32 v2, v2
	s_delay_alu instid0(VALU_DEP_1) | instskip(NEXT) | instid1(VALU_DEP_1)
	v_dual_lshlrev_b32 v0, 16, v0 :: v_dual_lshlrev_b32 v2, 8, v2
	v_cndmask_b32_e64 v0, 0, v0, s3
	v_cmp_ngt_f32_e64 s3, 0, v15
	s_delay_alu instid0(VALU_DEP_1) | instskip(NEXT) | instid1(VALU_DEP_1)
	v_cndmask_b32_e64 v2, 0, v2, s3
	v_or3_b32 v0, v0, v2, v1
	v_bfe_u32 v2, v9, 16, 8
	s_delay_alu instid0(VALU_DEP_2) | instskip(NEXT) | instid1(VALU_DEP_1)
	v_lshrrev_b32_e32 v1, 8, v0
	v_and_b32_e32 v1, 0xff, v1
	s_delay_alu instid0(VALU_DEP_1) | instskip(NEXT) | instid1(VALU_DEP_1)
	v_dual_sub_nc_u32 v1, v6, v1 :: v_dual_lshrrev_b32 v0, 16, v0
	v_and_b32_e32 v0, 0xff, v0
	s_delay_alu instid0(VALU_DEP_1) | instskip(NEXT) | instid1(VALU_DEP_1)
	v_dual_sub_nc_u32 v0, v2, v0 :: v_dual_sub_nc_u32 v2, 0, v1
	v_dual_sub_nc_u32 v6, 0, v0 :: v_dual_max_i32 v1, v1, v2
	s_delay_alu instid0(VALU_DEP_1) | instskip(NEXT) | instid1(VALU_DEP_2)
	v_cmp_gt_u32_e64 s3, 8, v1
	v_max_i32_e32 v0, v0, v6
	s_delay_alu instid0(VALU_DEP_1) | instskip(SKIP_1) | instid1(SALU_CYCLE_1)
	v_cmp_gt_u32_e64 s4, 7, v0
	s_and_b32 s3, s3, s4
	v_cndmask_b32_e64 v13, 0, 2, s3
.LBB0_7:
	s_or_b32 exec_lo, exec_lo, s10
.LBB0_8:
	s_delay_alu instid0(SALU_CYCLE_1)
	s_or_b32 exec_lo, exec_lo, s5
	s_add_co_i32 s3, s8, -1
	v_dual_add_nc_u32 v18, 1, v7 :: v_dual_mov_b32 v14, 0
	v_cmp_gt_i32_e64 s3, s3, v7
	v_mov_b32_e32 v15, 0
	s_and_b32 s2, s2, s3
	s_delay_alu instid0(SALU_CYCLE_1)
	s_and_saveexec_b32 s5, s2
	s_cbranch_execz .LBB0_12
; %bb.9:
	v_cndmask_b32_e64 v0, v11, v16, s2
	v_cndmask_b32_e64 v1, v7, v18, s2
	v_mov_b64_e32 v[16:17], 0x3de978d53f1645a2
	s_mov_b32 s10, exec_lo
	s_delay_alu instid0(VALU_DEP_2) | instskip(SKIP_3) | instid1(VALU_DEP_1)
	v_mad_u32 v0, v0, s8, v1
	global_load_b96 v[0:2], v0, s[6:7] scale_offset
	s_wait_loadcnt 0x0
	v_dual_mov_b32 v20, v1 :: v_dual_mov_b32 v21, v2
	v_pk_mul_f32 v[16:17], v[20:21], v[16:17]
	s_delay_alu instid0(VALU_DEP_1) | instskip(NEXT) | instid1(VALU_DEP_1)
	v_fmamk_f32 v1, v0, 0x3e991687, v16
	v_add_f32_e32 v6, v17, v1
	s_delay_alu instid0(VALU_DEP_1) | instskip(NEXT) | instid1(VALU_DEP_1)
	v_cmp_nlt_f32_e64 s2, 1.0, v6
	v_cndmask_b32_e64 v1, 1.0, v6, s2
	s_delay_alu instid0(VALU_DEP_1) | instskip(SKIP_1) | instid1(VALU_DEP_1)
	v_mul_f32_e32 v1, 0x437f0000, v1
	v_cmp_ngt_f32_e64 s2, 0, v6
	v_cndmask_b32_e64 v1, 0, v1, s2
	s_delay_alu instid0(VALU_DEP_1) | instskip(NEXT) | instid1(VALU_DEP_1)
	v_cvt_u32_f32_e32 v1, v1
	v_and_b32_e32 v15, 0xff, v1
	s_delay_alu instid0(VALU_DEP_1) | instskip(NEXT) | instid1(VALU_DEP_1)
	v_sub_nc_u32_e32 v15, v12, v15
	v_sub_nc_u32_e32 v16, 0, v15
	s_delay_alu instid0(VALU_DEP_1) | instskip(NEXT) | instid1(VALU_DEP_1)
	v_dual_mov_b32 v15, 0 :: v_dual_max_i32 v16, v15, v16
	v_cmpx_gt_u32_e32 49, v16
	s_cbranch_execz .LBB0_11
; %bb.10:
	v_dual_mov_b32 v16, v2 :: v_dual_mov_b32 v17, v0
	v_mov_b64_e32 v[20:21], 0x3f36872b3f10624e
	s_delay_alu instid0(VALU_DEP_2) | instskip(SKIP_1) | instid1(VALU_DEP_2)
	v_pk_add_f32 v[16:17], v[16:17], v[6:7] op_sel_hi:[1,0] neg_lo:[0,1] neg_hi:[0,1]
	v_bfe_u32 v6, v9, 8, 8
	v_pk_fma_f32 v[16:17], v[16:17], v[20:21], 0.5 op_sel_hi:[1,1,0]
	s_delay_alu instid0(VALU_DEP_1) | instskip(NEXT) | instid1(VALU_DEP_1)
	v_cmp_nlt_f32_e64 s2, 1.0, v16
	v_cndmask_b32_e64 v0, 1.0, v16, s2
	s_delay_alu instid0(VALU_DEP_3) | instskip(NEXT) | instid1(VALU_DEP_1)
	v_cmp_nlt_f32_e64 s2, 1.0, v17
	v_cndmask_b32_e64 v2, 1.0, v17, s2
	s_delay_alu instid0(VALU_DEP_3) | instskip(SKIP_1) | instid1(VALU_DEP_3)
	v_mul_f32_e32 v0, 0x437f0000, v0
	v_cmp_ngt_f32_e64 s2, 0, v16
	v_mul_f32_e32 v2, 0x437f0000, v2
	s_delay_alu instid0(VALU_DEP_3) | instskip(NEXT) | instid1(VALU_DEP_2)
	v_cvt_u32_f32_e32 v0, v0
	v_cvt_u32_f32_e32 v2, v2
	s_delay_alu instid0(VALU_DEP_1) | instskip(NEXT) | instid1(VALU_DEP_1)
	v_dual_lshlrev_b32 v0, 16, v0 :: v_dual_lshlrev_b32 v2, 8, v2
	v_cndmask_b32_e64 v0, 0, v0, s2
	v_cmp_ngt_f32_e64 s2, 0, v17
	s_delay_alu instid0(VALU_DEP_1) | instskip(NEXT) | instid1(VALU_DEP_1)
	v_cndmask_b32_e64 v2, 0, v2, s2
	v_or3_b32 v0, v0, v2, v1
	v_bfe_u32 v2, v9, 16, 8
	s_delay_alu instid0(VALU_DEP_2) | instskip(NEXT) | instid1(VALU_DEP_1)
	v_lshrrev_b32_e32 v1, 8, v0
	v_and_b32_e32 v1, 0xff, v1
	s_delay_alu instid0(VALU_DEP_1) | instskip(NEXT) | instid1(VALU_DEP_1)
	v_dual_sub_nc_u32 v1, v6, v1 :: v_dual_lshrrev_b32 v0, 16, v0
	v_and_b32_e32 v0, 0xff, v0
	s_delay_alu instid0(VALU_DEP_1) | instskip(NEXT) | instid1(VALU_DEP_1)
	v_dual_sub_nc_u32 v0, v2, v0 :: v_dual_sub_nc_u32 v2, 0, v1
	v_dual_sub_nc_u32 v6, 0, v0 :: v_dual_max_i32 v1, v1, v2
	s_delay_alu instid0(VALU_DEP_1) | instskip(NEXT) | instid1(VALU_DEP_2)
	v_cmp_gt_u32_e64 s2, 8, v1
	v_max_i32_e32 v0, v0, v6
	s_delay_alu instid0(VALU_DEP_1) | instskip(SKIP_1) | instid1(SALU_CYCLE_1)
	v_cmp_gt_u32_e64 s4, 7, v0
	s_and_b32 s2, s2, s4
	v_cndmask_b32_e64 v15, 0, 4, s2
.LBB0_11:
	s_or_b32 exec_lo, exec_lo, s10
.LBB0_12:
	s_delay_alu instid0(SALU_CYCLE_1)
	s_or_b32 exec_lo, exec_lo, s5
	s_and_saveexec_b32 s5, s3
	s_cbranch_execz .LBB0_16
; %bb.13:
	v_cndmask_b32_e64 v0, v7, v18, s3
	v_mov_b64_e32 v[16:17], 0x3de978d53f1645a2
	s_mov_b32 s10, exec_lo
	s_delay_alu instid0(VALU_DEP_2) | instskip(SKIP_3) | instid1(VALU_DEP_1)
	v_add_nc_u32_e32 v0, v0, v3
	global_load_b96 v[0:2], v0, s[6:7] scale_offset
	s_wait_loadcnt 0x0
	v_dual_mov_b32 v20, v1 :: v_dual_mov_b32 v21, v2
	v_pk_mul_f32 v[16:17], v[20:21], v[16:17]
	s_delay_alu instid0(VALU_DEP_1) | instskip(NEXT) | instid1(VALU_DEP_1)
	v_fmamk_f32 v1, v0, 0x3e991687, v16
	v_add_f32_e32 v6, v17, v1
	s_delay_alu instid0(VALU_DEP_1) | instskip(NEXT) | instid1(VALU_DEP_1)
	v_cmp_nlt_f32_e64 s2, 1.0, v6
	v_cndmask_b32_e64 v1, 1.0, v6, s2
	s_delay_alu instid0(VALU_DEP_1) | instskip(SKIP_1) | instid1(VALU_DEP_1)
	v_mul_f32_e32 v1, 0x437f0000, v1
	v_cmp_ngt_f32_e64 s2, 0, v6
	v_cndmask_b32_e64 v1, 0, v1, s2
	s_delay_alu instid0(VALU_DEP_1) | instskip(NEXT) | instid1(VALU_DEP_1)
	v_cvt_u32_f32_e32 v1, v1
	v_and_b32_e32 v14, 0xff, v1
	s_delay_alu instid0(VALU_DEP_1) | instskip(NEXT) | instid1(VALU_DEP_1)
	v_sub_nc_u32_e32 v14, v12, v14
	v_sub_nc_u32_e32 v16, 0, v14
	s_delay_alu instid0(VALU_DEP_1) | instskip(NEXT) | instid1(VALU_DEP_1)
	v_dual_mov_b32 v14, 0 :: v_dual_max_i32 v16, v14, v16
	v_cmpx_gt_u32_e32 49, v16
	s_cbranch_execz .LBB0_15
; %bb.14:
	v_dual_mov_b32 v16, v2 :: v_dual_mov_b32 v17, v0
	v_mov_b64_e32 v[20:21], 0x3f36872b3f10624e
	s_delay_alu instid0(VALU_DEP_2) | instskip(SKIP_1) | instid1(VALU_DEP_2)
	v_pk_add_f32 v[16:17], v[16:17], v[6:7] op_sel_hi:[1,0] neg_lo:[0,1] neg_hi:[0,1]
	v_bfe_u32 v6, v9, 8, 8
	v_pk_fma_f32 v[16:17], v[16:17], v[20:21], 0.5 op_sel_hi:[1,1,0]
	s_delay_alu instid0(VALU_DEP_1) | instskip(NEXT) | instid1(VALU_DEP_1)
	v_cmp_nlt_f32_e64 s2, 1.0, v16
	v_cndmask_b32_e64 v0, 1.0, v16, s2
	s_delay_alu instid0(VALU_DEP_3) | instskip(NEXT) | instid1(VALU_DEP_1)
	v_cmp_nlt_f32_e64 s2, 1.0, v17
	v_cndmask_b32_e64 v2, 1.0, v17, s2
	s_delay_alu instid0(VALU_DEP_3) | instskip(SKIP_1) | instid1(VALU_DEP_3)
	v_mul_f32_e32 v0, 0x437f0000, v0
	v_cmp_ngt_f32_e64 s2, 0, v16
	v_mul_f32_e32 v2, 0x437f0000, v2
	s_delay_alu instid0(VALU_DEP_3) | instskip(NEXT) | instid1(VALU_DEP_2)
	v_cvt_u32_f32_e32 v0, v0
	v_cvt_u32_f32_e32 v2, v2
	s_delay_alu instid0(VALU_DEP_1) | instskip(NEXT) | instid1(VALU_DEP_1)
	v_dual_lshlrev_b32 v0, 16, v0 :: v_dual_lshlrev_b32 v2, 8, v2
	v_cndmask_b32_e64 v0, 0, v0, s2
	v_cmp_ngt_f32_e64 s2, 0, v17
	s_delay_alu instid0(VALU_DEP_1) | instskip(NEXT) | instid1(VALU_DEP_1)
	v_cndmask_b32_e64 v2, 0, v2, s2
	v_or3_b32 v0, v0, v2, v1
	v_bfe_u32 v2, v9, 16, 8
	s_delay_alu instid0(VALU_DEP_2) | instskip(NEXT) | instid1(VALU_DEP_1)
	v_lshrrev_b32_e32 v1, 8, v0
	v_and_b32_e32 v1, 0xff, v1
	s_delay_alu instid0(VALU_DEP_1) | instskip(NEXT) | instid1(VALU_DEP_1)
	v_dual_sub_nc_u32 v1, v6, v1 :: v_dual_lshrrev_b32 v0, 16, v0
	v_and_b32_e32 v0, 0xff, v0
	s_delay_alu instid0(VALU_DEP_1) | instskip(NEXT) | instid1(VALU_DEP_1)
	v_dual_sub_nc_u32 v0, v2, v0 :: v_dual_sub_nc_u32 v2, 0, v1
	v_dual_sub_nc_u32 v6, 0, v0 :: v_dual_max_i32 v1, v1, v2
	s_delay_alu instid0(VALU_DEP_1) | instskip(NEXT) | instid1(VALU_DEP_2)
	v_cmp_gt_u32_e64 s2, 8, v1
	v_max_i32_e32 v0, v0, v6
	s_delay_alu instid0(VALU_DEP_1) | instskip(SKIP_1) | instid1(SALU_CYCLE_1)
	v_cmp_gt_u32_e64 s4, 7, v0
	s_and_b32 s2, s2, s4
	v_cndmask_b32_e64 v14, 0, 8, s2
.LBB0_15:
	s_or_b32 exec_lo, exec_lo, s10
.LBB0_16:
	s_delay_alu instid0(SALU_CYCLE_1)
	s_or_b32 exec_lo, exec_lo, s5
	s_add_co_i32 s2, s9, -1
	v_dual_mov_b32 v16, 0 :: v_dual_add_nc_u32 v19, 1, v11
	v_cmp_gt_i32_e64 s2, s2, v11
	v_mov_b32_e32 v17, 0
	s_and_b32 s3, s2, s3
	s_delay_alu instid0(SALU_CYCLE_1)
	s_and_saveexec_b32 s5, s3
	s_cbranch_execz .LBB0_20
; %bb.17:
	v_cndmask_b32_e64 v0, v11, v19, s3
	v_cndmask_b32_e64 v1, v7, v18, s3
	v_mov_b64_e32 v[20:21], 0x3de978d53f1645a2
	s_mov_b32 s9, exec_lo
	s_delay_alu instid0(VALU_DEP_2) | instskip(SKIP_3) | instid1(VALU_DEP_1)
	v_mad_u32 v0, v0, s8, v1
	global_load_b96 v[0:2], v0, s[6:7] scale_offset
	s_wait_loadcnt 0x0
	v_dual_mov_b32 v22, v1 :: v_dual_mov_b32 v23, v2
	v_pk_mul_f32 v[20:21], v[22:23], v[20:21]
	s_delay_alu instid0(VALU_DEP_1) | instskip(NEXT) | instid1(VALU_DEP_1)
	v_fmamk_f32 v1, v0, 0x3e991687, v20
	v_add_f32_e32 v6, v21, v1
	s_delay_alu instid0(VALU_DEP_1) | instskip(NEXT) | instid1(VALU_DEP_1)
	v_cmp_nlt_f32_e64 s3, 1.0, v6
	v_cndmask_b32_e64 v1, 1.0, v6, s3
	s_delay_alu instid0(VALU_DEP_1) | instskip(SKIP_1) | instid1(VALU_DEP_1)
	v_mul_f32_e32 v1, 0x437f0000, v1
	v_cmp_ngt_f32_e64 s3, 0, v6
	v_cndmask_b32_e64 v1, 0, v1, s3
	s_delay_alu instid0(VALU_DEP_1) | instskip(NEXT) | instid1(VALU_DEP_1)
	v_cvt_u32_f32_e32 v1, v1
	v_and_b32_e32 v17, 0xff, v1
	s_delay_alu instid0(VALU_DEP_1) | instskip(NEXT) | instid1(VALU_DEP_1)
	v_sub_nc_u32_e32 v17, v12, v17
	v_sub_nc_u32_e32 v18, 0, v17
	s_delay_alu instid0(VALU_DEP_1) | instskip(NEXT) | instid1(VALU_DEP_1)
	v_dual_mov_b32 v17, 0 :: v_dual_max_i32 v18, v17, v18
	v_cmpx_gt_u32_e32 49, v18
	s_cbranch_execz .LBB0_19
; %bb.18:
	v_dual_mov_b32 v20, v2 :: v_dual_mov_b32 v21, v0
	v_mov_b64_e32 v[22:23], 0x3f36872b3f10624e
	s_delay_alu instid0(VALU_DEP_2) | instskip(SKIP_1) | instid1(VALU_DEP_2)
	v_pk_add_f32 v[20:21], v[20:21], v[6:7] op_sel_hi:[1,0] neg_lo:[0,1] neg_hi:[0,1]
	v_bfe_u32 v6, v9, 8, 8
	v_pk_fma_f32 v[20:21], v[20:21], v[22:23], 0.5 op_sel_hi:[1,1,0]
	s_delay_alu instid0(VALU_DEP_1) | instskip(NEXT) | instid1(VALU_DEP_1)
	v_cmp_nlt_f32_e64 s3, 1.0, v20
	v_cndmask_b32_e64 v0, 1.0, v20, s3
	s_delay_alu instid0(VALU_DEP_3) | instskip(NEXT) | instid1(VALU_DEP_1)
	v_cmp_nlt_f32_e64 s3, 1.0, v21
	v_cndmask_b32_e64 v2, 1.0, v21, s3
	s_delay_alu instid0(VALU_DEP_3) | instskip(SKIP_1) | instid1(VALU_DEP_3)
	v_mul_f32_e32 v0, 0x437f0000, v0
	v_cmp_ngt_f32_e64 s3, 0, v20
	v_mul_f32_e32 v2, 0x437f0000, v2
	s_delay_alu instid0(VALU_DEP_3) | instskip(NEXT) | instid1(VALU_DEP_2)
	v_cvt_u32_f32_e32 v0, v0
	v_cvt_u32_f32_e32 v2, v2
	s_delay_alu instid0(VALU_DEP_1) | instskip(NEXT) | instid1(VALU_DEP_1)
	v_dual_lshlrev_b32 v0, 16, v0 :: v_dual_lshlrev_b32 v2, 8, v2
	v_cndmask_b32_e64 v0, 0, v0, s3
	v_cmp_ngt_f32_e64 s3, 0, v21
	s_delay_alu instid0(VALU_DEP_1) | instskip(NEXT) | instid1(VALU_DEP_1)
	v_cndmask_b32_e64 v2, 0, v2, s3
	v_or3_b32 v0, v0, v2, v1
	v_bfe_u32 v2, v9, 16, 8
	s_delay_alu instid0(VALU_DEP_2) | instskip(NEXT) | instid1(VALU_DEP_1)
	v_lshrrev_b32_e32 v1, 8, v0
	v_and_b32_e32 v1, 0xff, v1
	s_delay_alu instid0(VALU_DEP_1) | instskip(NEXT) | instid1(VALU_DEP_1)
	v_dual_sub_nc_u32 v1, v6, v1 :: v_dual_lshrrev_b32 v0, 16, v0
	v_and_b32_e32 v0, 0xff, v0
	s_delay_alu instid0(VALU_DEP_1) | instskip(NEXT) | instid1(VALU_DEP_1)
	v_dual_sub_nc_u32 v0, v2, v0 :: v_dual_sub_nc_u32 v2, 0, v1
	v_dual_sub_nc_u32 v6, 0, v0 :: v_dual_max_i32 v1, v1, v2
	s_delay_alu instid0(VALU_DEP_1) | instskip(NEXT) | instid1(VALU_DEP_2)
	v_cmp_gt_u32_e64 s3, 8, v1
	v_max_i32_e32 v0, v0, v6
	s_delay_alu instid0(VALU_DEP_1) | instskip(SKIP_1) | instid1(SALU_CYCLE_1)
	v_cmp_gt_u32_e64 s4, 7, v0
	s_and_b32 s3, s3, s4
	v_cndmask_b32_e64 v17, 0, 16, s3
.LBB0_19:
	s_or_b32 exec_lo, exec_lo, s9
.LBB0_20:
	s_delay_alu instid0(SALU_CYCLE_1)
	s_or_b32 exec_lo, exec_lo, s5
	s_and_saveexec_b32 s5, s2
	s_cbranch_execz .LBB0_24
; %bb.21:
	v_cndmask_b32_e64 v0, v11, v19, s2
	v_mov_b64_e32 v[20:21], 0x3de978d53f1645a2
	s_mov_b32 s9, exec_lo
	s_delay_alu instid0(VALU_DEP_2) | instskip(SKIP_3) | instid1(VALU_DEP_1)
	v_mad_u32 v0, v0, s8, v7
	global_load_b96 v[0:2], v0, s[6:7] scale_offset
	s_wait_loadcnt 0x0
	v_dual_mov_b32 v22, v1 :: v_dual_mov_b32 v23, v2
	v_pk_mul_f32 v[20:21], v[22:23], v[20:21]
	s_delay_alu instid0(VALU_DEP_1) | instskip(NEXT) | instid1(VALU_DEP_1)
	v_fmamk_f32 v1, v0, 0x3e991687, v20
	v_add_f32_e32 v6, v21, v1
	s_delay_alu instid0(VALU_DEP_1) | instskip(NEXT) | instid1(VALU_DEP_1)
	v_cmp_nlt_f32_e64 s3, 1.0, v6
	v_cndmask_b32_e64 v1, 1.0, v6, s3
	v_cmp_ngt_f32_e64 s3, 0, v6
	s_delay_alu instid0(VALU_DEP_2) | instskip(NEXT) | instid1(VALU_DEP_1)
	v_mul_f32_e32 v1, 0x437f0000, v1
	v_cndmask_b32_e64 v1, 0, v1, s3
	s_delay_alu instid0(VALU_DEP_1) | instskip(NEXT) | instid1(VALU_DEP_1)
	v_cvt_u32_f32_e32 v1, v1
	v_and_b32_e32 v16, 0xff, v1
	s_delay_alu instid0(VALU_DEP_1) | instskip(NEXT) | instid1(VALU_DEP_1)
	v_sub_nc_u32_e32 v16, v12, v16
	v_sub_nc_u32_e32 v18, 0, v16
	s_delay_alu instid0(VALU_DEP_1) | instskip(NEXT) | instid1(VALU_DEP_1)
	v_dual_mov_b32 v16, 0 :: v_dual_max_i32 v18, v16, v18
	v_cmpx_gt_u32_e32 49, v18
	s_cbranch_execz .LBB0_23
; %bb.22:
	v_dual_mov_b32 v20, v2 :: v_dual_mov_b32 v21, v0
	v_mov_b64_e32 v[22:23], 0x3f36872b3f10624e
	s_delay_alu instid0(VALU_DEP_2) | instskip(SKIP_1) | instid1(VALU_DEP_2)
	v_pk_add_f32 v[20:21], v[20:21], v[6:7] op_sel_hi:[1,0] neg_lo:[0,1] neg_hi:[0,1]
	v_bfe_u32 v6, v9, 8, 8
	v_pk_fma_f32 v[20:21], v[20:21], v[22:23], 0.5 op_sel_hi:[1,1,0]
	s_delay_alu instid0(VALU_DEP_1) | instskip(NEXT) | instid1(VALU_DEP_1)
	v_cmp_nlt_f32_e64 s3, 1.0, v20
	v_cndmask_b32_e64 v0, 1.0, v20, s3
	s_delay_alu instid0(VALU_DEP_3) | instskip(NEXT) | instid1(VALU_DEP_1)
	v_cmp_nlt_f32_e64 s3, 1.0, v21
	v_cndmask_b32_e64 v2, 1.0, v21, s3
	s_delay_alu instid0(VALU_DEP_3) | instskip(SKIP_1) | instid1(VALU_DEP_3)
	v_mul_f32_e32 v0, 0x437f0000, v0
	v_cmp_ngt_f32_e64 s3, 0, v20
	v_mul_f32_e32 v2, 0x437f0000, v2
	s_delay_alu instid0(VALU_DEP_3) | instskip(NEXT) | instid1(VALU_DEP_2)
	v_cvt_u32_f32_e32 v0, v0
	v_cvt_u32_f32_e32 v2, v2
	s_delay_alu instid0(VALU_DEP_1) | instskip(NEXT) | instid1(VALU_DEP_1)
	v_dual_lshlrev_b32 v0, 16, v0 :: v_dual_lshlrev_b32 v2, 8, v2
	v_cndmask_b32_e64 v0, 0, v0, s3
	v_cmp_ngt_f32_e64 s3, 0, v21
	s_delay_alu instid0(VALU_DEP_1) | instskip(NEXT) | instid1(VALU_DEP_1)
	v_cndmask_b32_e64 v2, 0, v2, s3
	v_or3_b32 v0, v0, v2, v1
	v_bfe_u32 v2, v9, 16, 8
	s_delay_alu instid0(VALU_DEP_2) | instskip(NEXT) | instid1(VALU_DEP_1)
	v_lshrrev_b32_e32 v1, 8, v0
	v_and_b32_e32 v1, 0xff, v1
	s_delay_alu instid0(VALU_DEP_1) | instskip(NEXT) | instid1(VALU_DEP_1)
	v_dual_sub_nc_u32 v1, v6, v1 :: v_dual_lshrrev_b32 v0, 16, v0
	v_and_b32_e32 v0, 0xff, v0
	s_delay_alu instid0(VALU_DEP_1) | instskip(NEXT) | instid1(VALU_DEP_1)
	v_dual_sub_nc_u32 v0, v2, v0 :: v_dual_sub_nc_u32 v2, 0, v1
	v_dual_sub_nc_u32 v6, 0, v0 :: v_dual_max_i32 v1, v1, v2
	s_delay_alu instid0(VALU_DEP_1) | instskip(NEXT) | instid1(VALU_DEP_2)
	v_cmp_gt_u32_e64 s3, 8, v1
	v_max_i32_e32 v0, v0, v6
	s_delay_alu instid0(VALU_DEP_1) | instskip(SKIP_1) | instid1(SALU_CYCLE_1)
	v_cmp_gt_u32_e64 s4, 7, v0
	s_and_b32 s3, s3, s4
	v_cndmask_b32_e64 v16, 0, 32, s3
.LBB0_23:
	s_or_b32 exec_lo, exec_lo, s9
.LBB0_24:
	s_delay_alu instid0(SALU_CYCLE_1) | instskip(SKIP_2) | instid1(SALU_CYCLE_1)
	s_or_b32 exec_lo, exec_lo, s5
	v_dual_mov_b32 v18, 0 :: v_dual_mov_b32 v20, 0
	s_and_b32 s2, s2, vcc_lo
	s_and_saveexec_b32 s4, s2
	s_cbranch_execz .LBB0_28
; %bb.25:
	v_cndmask_b32_e64 v0, v11, v19, s2
	v_cndmask_b32_e64 v1, v7, v8, s2
	v_mov_b64_e32 v[20:21], 0x3de978d53f1645a2
	s_mov_b32 s5, exec_lo
	s_delay_alu instid0(VALU_DEP_2) | instskip(SKIP_3) | instid1(VALU_DEP_1)
	v_mad_u32 v0, v0, s8, v1
	global_load_b96 v[0:2], v0, s[6:7] scale_offset
	s_wait_loadcnt 0x0
	v_dual_mov_b32 v22, v1 :: v_dual_mov_b32 v23, v2
	v_pk_mul_f32 v[20:21], v[22:23], v[20:21]
	s_delay_alu instid0(VALU_DEP_1) | instskip(NEXT) | instid1(VALU_DEP_1)
	v_dual_fmamk_f32 v1, v0, 0x3e991687, v20 :: v_dual_mov_b32 v20, 0
	v_add_f32_e32 v6, v21, v1
	s_delay_alu instid0(VALU_DEP_1) | instskip(NEXT) | instid1(VALU_DEP_1)
	v_cmp_nlt_f32_e64 s2, 1.0, v6
	v_cndmask_b32_e64 v1, 1.0, v6, s2
	s_delay_alu instid0(VALU_DEP_1) | instskip(SKIP_1) | instid1(VALU_DEP_1)
	v_mul_f32_e32 v1, 0x437f0000, v1
	v_cmp_ngt_f32_e64 s2, 0, v6
	v_cndmask_b32_e64 v1, 0, v1, s2
	s_delay_alu instid0(VALU_DEP_1) | instskip(NEXT) | instid1(VALU_DEP_1)
	v_cvt_u32_f32_e32 v1, v1
	v_and_b32_e32 v11, 0xff, v1
	s_delay_alu instid0(VALU_DEP_1) | instskip(NEXT) | instid1(VALU_DEP_1)
	v_sub_nc_u32_e32 v11, v12, v11
	v_sub_nc_u32_e32 v19, 0, v11
	s_delay_alu instid0(VALU_DEP_1) | instskip(NEXT) | instid1(VALU_DEP_1)
	v_max_i32_e32 v11, v11, v19
	v_cmpx_gt_u32_e32 49, v11
	s_cbranch_execz .LBB0_27
; %bb.26:
	v_dual_mov_b32 v20, v2 :: v_dual_mov_b32 v21, v0
	v_mov_b64_e32 v[22:23], 0x3f36872b3f10624e
	s_delay_alu instid0(VALU_DEP_2) | instskip(SKIP_1) | instid1(VALU_DEP_2)
	v_pk_add_f32 v[20:21], v[20:21], v[6:7] op_sel_hi:[1,0] neg_lo:[0,1] neg_hi:[0,1]
	v_bfe_u32 v6, v9, 8, 8
	v_pk_fma_f32 v[20:21], v[20:21], v[22:23], 0.5 op_sel_hi:[1,1,0]
	s_delay_alu instid0(VALU_DEP_1) | instskip(NEXT) | instid1(VALU_DEP_1)
	v_cmp_nlt_f32_e64 s2, 1.0, v20
	v_cndmask_b32_e64 v0, 1.0, v20, s2
	s_delay_alu instid0(VALU_DEP_3) | instskip(NEXT) | instid1(VALU_DEP_1)
	v_cmp_nlt_f32_e64 s2, 1.0, v21
	v_cndmask_b32_e64 v2, 1.0, v21, s2
	s_delay_alu instid0(VALU_DEP_3) | instskip(SKIP_1) | instid1(VALU_DEP_3)
	v_mul_f32_e32 v0, 0x437f0000, v0
	v_cmp_ngt_f32_e64 s2, 0, v20
	v_mul_f32_e32 v2, 0x437f0000, v2
	s_delay_alu instid0(VALU_DEP_3) | instskip(NEXT) | instid1(VALU_DEP_2)
	v_cvt_u32_f32_e32 v0, v0
	v_cvt_u32_f32_e32 v2, v2
	s_delay_alu instid0(VALU_DEP_1) | instskip(NEXT) | instid1(VALU_DEP_1)
	v_dual_lshlrev_b32 v0, 16, v0 :: v_dual_lshlrev_b32 v2, 8, v2
	v_cndmask_b32_e64 v0, 0, v0, s2
	v_cmp_ngt_f32_e64 s2, 0, v21
	s_delay_alu instid0(VALU_DEP_1) | instskip(NEXT) | instid1(VALU_DEP_1)
	v_cndmask_b32_e64 v2, 0, v2, s2
	v_or3_b32 v0, v0, v2, v1
	v_bfe_u32 v2, v9, 16, 8
	s_delay_alu instid0(VALU_DEP_2) | instskip(NEXT) | instid1(VALU_DEP_1)
	v_lshrrev_b32_e32 v1, 8, v0
	v_and_b32_e32 v1, 0xff, v1
	s_delay_alu instid0(VALU_DEP_1) | instskip(NEXT) | instid1(VALU_DEP_1)
	v_dual_sub_nc_u32 v1, v6, v1 :: v_dual_lshrrev_b32 v0, 16, v0
	v_and_b32_e32 v0, 0xff, v0
	s_delay_alu instid0(VALU_DEP_1) | instskip(NEXT) | instid1(VALU_DEP_1)
	v_dual_sub_nc_u32 v0, v2, v0 :: v_dual_sub_nc_u32 v2, 0, v1
	v_dual_sub_nc_u32 v6, 0, v0 :: v_dual_max_i32 v1, v1, v2
	s_delay_alu instid0(VALU_DEP_1) | instskip(NEXT) | instid1(VALU_DEP_2)
	v_cmp_gt_u32_e64 s2, 8, v1
	v_max_i32_e32 v0, v0, v6
	s_delay_alu instid0(VALU_DEP_1) | instskip(SKIP_1) | instid1(SALU_CYCLE_1)
	v_cmp_gt_u32_e64 s3, 7, v0
	s_and_b32 s2, s2, s3
	v_cndmask_b32_e64 v20, 0, 64, s2
.LBB0_27:
	s_or_b32 exec_lo, exec_lo, s5
.LBB0_28:
	s_delay_alu instid0(SALU_CYCLE_1)
	s_or_b32 exec_lo, exec_lo, s4
	s_load_b64 s[2:3], s[0:1], 0x8
	s_wait_xcnt 0x0
	s_and_saveexec_b32 s1, vcc_lo
	s_cbranch_execz .LBB0_32
; %bb.29:
	v_cndmask_b32_e32 v0, v7, v8, vcc_lo
	v_mov_b64_e32 v[6:7], 0x3de978d53f1645a2
	s_mov_b32 s4, exec_lo
	s_delay_alu instid0(VALU_DEP_2) | instskip(SKIP_3) | instid1(VALU_DEP_1)
	v_add_nc_u32_e32 v0, v0, v3
	global_load_b96 v[0:2], v0, s[6:7] scale_offset
	s_wait_loadcnt 0x0
	v_dual_mov_b32 v18, v1 :: v_dual_mov_b32 v19, v2
	v_pk_mul_f32 v[6:7], v[18:19], v[6:7]
	s_delay_alu instid0(VALU_DEP_1) | instskip(NEXT) | instid1(VALU_DEP_1)
	v_dual_mov_b32 v18, 0 :: v_dual_fmamk_f32 v1, v0, 0x3e991687, v6
	v_add_f32_e32 v6, v7, v1
	s_delay_alu instid0(VALU_DEP_1) | instskip(SKIP_1) | instid1(VALU_DEP_1)
	v_cmp_nlt_f32_e32 vcc_lo, 1.0, v6
	v_cndmask_b32_e32 v1, 1.0, v6, vcc_lo
	v_mul_f32_e32 v1, 0x437f0000, v1
	v_cmp_ngt_f32_e32 vcc_lo, 0, v6
	s_delay_alu instid0(VALU_DEP_2) | instskip(NEXT) | instid1(VALU_DEP_1)
	v_cndmask_b32_e32 v1, 0, v1, vcc_lo
	v_cvt_u32_f32_e32 v1, v1
	s_delay_alu instid0(VALU_DEP_1) | instskip(NEXT) | instid1(VALU_DEP_1)
	v_and_b32_e32 v3, 0xff, v1
	v_sub_nc_u32_e32 v3, v12, v3
	s_delay_alu instid0(VALU_DEP_1) | instskip(NEXT) | instid1(VALU_DEP_1)
	v_sub_nc_u32_e32 v7, 0, v3
	v_max_i32_e32 v3, v3, v7
	s_delay_alu instid0(VALU_DEP_1)
	v_cmpx_gt_u32_e32 49, v3
	s_cbranch_execz .LBB0_31
; %bb.30:
	v_mov_b32_e32 v3, v0
	v_mov_b64_e32 v[18:19], 0x3f36872b3f10624e
	s_delay_alu instid0(VALU_DEP_2) | instskip(NEXT) | instid1(VALU_DEP_1)
	v_pk_add_f32 v[2:3], v[2:3], v[6:7] op_sel_hi:[1,0] neg_lo:[0,1] neg_hi:[0,1]
	v_pk_fma_f32 v[2:3], v[2:3], v[18:19], 0.5 op_sel_hi:[1,1,0]
	s_delay_alu instid0(VALU_DEP_1) | instskip(SKIP_1) | instid1(VALU_DEP_3)
	v_cmp_nlt_f32_e32 vcc_lo, 1.0, v2
	v_cndmask_b32_e32 v0, 1.0, v2, vcc_lo
	v_cmp_nlt_f32_e32 vcc_lo, 1.0, v3
	s_delay_alu instid0(VALU_DEP_2) | instskip(NEXT) | instid1(VALU_DEP_1)
	v_mul_f32_e32 v0, 0x437f0000, v0
	v_cvt_u32_f32_e32 v0, v0
	v_cndmask_b32_e32 v6, 1.0, v3, vcc_lo
	v_cmp_ngt_f32_e32 vcc_lo, 0, v2
	s_delay_alu instid0(VALU_DEP_3) | instskip(NEXT) | instid1(VALU_DEP_3)
	v_lshlrev_b32_e32 v0, 16, v0
	v_mul_f32_e32 v6, 0x437f0000, v6
	s_delay_alu instid0(VALU_DEP_2) | instskip(NEXT) | instid1(VALU_DEP_2)
	v_cndmask_b32_e32 v0, 0, v0, vcc_lo
	v_cvt_u32_f32_e32 v6, v6
	v_cmp_ngt_f32_e32 vcc_lo, 0, v3
	v_bfe_u32 v3, v9, 8, 8
	s_delay_alu instid0(VALU_DEP_3) | instskip(NEXT) | instid1(VALU_DEP_1)
	v_lshlrev_b32_e32 v6, 8, v6
	v_cndmask_b32_e32 v2, 0, v6, vcc_lo
	s_delay_alu instid0(VALU_DEP_1) | instskip(SKIP_1) | instid1(VALU_DEP_2)
	v_or3_b32 v0, v0, v2, v1
	v_bfe_u32 v2, v9, 16, 8
	v_dual_lshrrev_b32 v1, 8, v0 :: v_dual_lshrrev_b32 v0, 16, v0
	s_delay_alu instid0(VALU_DEP_1) | instskip(NEXT) | instid1(VALU_DEP_2)
	v_and_b32_e32 v1, 0xff, v1
	v_and_b32_e32 v0, 0xff, v0
	s_delay_alu instid0(VALU_DEP_1) | instskip(NEXT) | instid1(VALU_DEP_1)
	v_dual_sub_nc_u32 v1, v3, v1 :: v_dual_sub_nc_u32 v0, v2, v0
	v_dual_sub_nc_u32 v2, 0, v1 :: v_dual_sub_nc_u32 v3, 0, v0
	s_delay_alu instid0(VALU_DEP_1) | instskip(NEXT) | instid1(VALU_DEP_2)
	v_max_i32_e32 v1, v1, v2
	v_max_i32_e32 v0, v0, v3
	s_delay_alu instid0(VALU_DEP_2) | instskip(NEXT) | instid1(VALU_DEP_2)
	v_cmp_gt_u32_e32 vcc_lo, 8, v1
	v_cmp_gt_u32_e64 s0, 7, v0
	s_and_b32 s0, vcc_lo, s0
	s_delay_alu instid0(SALU_CYCLE_1)
	v_cndmask_b32_e64 v18, 0, 0x80, s0
.LBB0_31:
	s_or_b32 exec_lo, exec_lo, s4
.LBB0_32:
	s_delay_alu instid0(SALU_CYCLE_1) | instskip(SKIP_1) | instid1(VALU_DEP_1)
	s_or_b32 exec_lo, exec_lo, s1
	v_lshl_or_b32 v0, v9, 8, v10
	v_or3_b32 v0, v0, v13, v15
	s_delay_alu instid0(VALU_DEP_1) | instskip(NEXT) | instid1(VALU_DEP_1)
	v_or3_b32 v0, v0, v14, v17
	v_add_nc_u32_e32 v0, v0, v16
	s_delay_alu instid0(VALU_DEP_1)
	v_add3_u32 v2, v0, v20, v18
	s_wait_kmcnt 0x0
	v_lshl_add_u64 v[0:1], v[4:5], 2, s[2:3]
	global_store_b32 v[0:1], v2, off
	s_endpgm
	.section	.rodata,"a",@progbits
	.p2align	6, 0x0
	.amdhsa_kernel _Z13check_connectPK15HIP_vector_typeIfLj3EEPjii
		.amdhsa_group_segment_fixed_size 0
		.amdhsa_private_segment_fixed_size 0
		.amdhsa_kernarg_size 280
		.amdhsa_user_sgpr_count 2
		.amdhsa_user_sgpr_dispatch_ptr 0
		.amdhsa_user_sgpr_queue_ptr 0
		.amdhsa_user_sgpr_kernarg_segment_ptr 1
		.amdhsa_user_sgpr_dispatch_id 0
		.amdhsa_user_sgpr_kernarg_preload_length 0
		.amdhsa_user_sgpr_kernarg_preload_offset 0
		.amdhsa_user_sgpr_private_segment_size 0
		.amdhsa_wavefront_size32 1
		.amdhsa_uses_dynamic_stack 0
		.amdhsa_enable_private_segment 0
		.amdhsa_system_sgpr_workgroup_id_x 1
		.amdhsa_system_sgpr_workgroup_id_y 0
		.amdhsa_system_sgpr_workgroup_id_z 0
		.amdhsa_system_sgpr_workgroup_info 0
		.amdhsa_system_vgpr_workitem_id 0
		.amdhsa_next_free_vgpr 26
		.amdhsa_next_free_sgpr 12
		.amdhsa_named_barrier_count 0
		.amdhsa_reserve_vcc 1
		.amdhsa_float_round_mode_32 0
		.amdhsa_float_round_mode_16_64 0
		.amdhsa_float_denorm_mode_32 3
		.amdhsa_float_denorm_mode_16_64 3
		.amdhsa_fp16_overflow 0
		.amdhsa_memory_ordered 1
		.amdhsa_forward_progress 1
		.amdhsa_inst_pref_size 37
		.amdhsa_round_robin_scheduling 0
		.amdhsa_exception_fp_ieee_invalid_op 0
		.amdhsa_exception_fp_denorm_src 0
		.amdhsa_exception_fp_ieee_div_zero 0
		.amdhsa_exception_fp_ieee_overflow 0
		.amdhsa_exception_fp_ieee_underflow 0
		.amdhsa_exception_fp_ieee_inexact 0
		.amdhsa_exception_int_div_zero 0
	.end_amdhsa_kernel
	.text
.Lfunc_end0:
	.size	_Z13check_connectPK15HIP_vector_typeIfLj3EEPjii, .Lfunc_end0-_Z13check_connectPK15HIP_vector_typeIfLj3EEPjii
                                        ; -- End function
	.set _Z13check_connectPK15HIP_vector_typeIfLj3EEPjii.num_vgpr, 26
	.set _Z13check_connectPK15HIP_vector_typeIfLj3EEPjii.num_agpr, 0
	.set _Z13check_connectPK15HIP_vector_typeIfLj3EEPjii.numbered_sgpr, 12
	.set _Z13check_connectPK15HIP_vector_typeIfLj3EEPjii.num_named_barrier, 0
	.set _Z13check_connectPK15HIP_vector_typeIfLj3EEPjii.private_seg_size, 0
	.set _Z13check_connectPK15HIP_vector_typeIfLj3EEPjii.uses_vcc, 1
	.set _Z13check_connectPK15HIP_vector_typeIfLj3EEPjii.uses_flat_scratch, 0
	.set _Z13check_connectPK15HIP_vector_typeIfLj3EEPjii.has_dyn_sized_stack, 0
	.set _Z13check_connectPK15HIP_vector_typeIfLj3EEPjii.has_recursion, 0
	.set _Z13check_connectPK15HIP_vector_typeIfLj3EEPjii.has_indirect_call, 0
	.section	.AMDGPU.csdata,"",@progbits
; Kernel info:
; codeLenInByte = 4652
; TotalNumSgprs: 14
; NumVgprs: 26
; ScratchSize: 0
; MemoryBound: 0
; FloatMode: 240
; IeeeMode: 1
; LDSByteSize: 0 bytes/workgroup (compile time only)
; SGPRBlocks: 0
; VGPRBlocks: 1
; NumSGPRsForWavesPerEU: 14
; NumVGPRsForWavesPerEU: 26
; NamedBarCnt: 0
; Occupancy: 16
; WaveLimiterHint : 0
; COMPUTE_PGM_RSRC2:SCRATCH_EN: 0
; COMPUTE_PGM_RSRC2:USER_SGPR: 2
; COMPUTE_PGM_RSRC2:TRAP_HANDLER: 0
; COMPUTE_PGM_RSRC2:TGID_X_EN: 1
; COMPUTE_PGM_RSRC2:TGID_Y_EN: 0
; COMPUTE_PGM_RSRC2:TGID_Z_EN: 0
; COMPUTE_PGM_RSRC2:TIDIG_COMP_CNT: 0
	.text
	.protected	_Z17eliminate_crossesPKjPjii ; -- Begin function _Z17eliminate_crossesPKjPjii
	.globl	_Z17eliminate_crossesPKjPjii
	.p2align	8
	.type	_Z17eliminate_crossesPKjPjii,@function
_Z17eliminate_crossesPKjPjii:           ; @_Z17eliminate_crossesPKjPjii
; %bb.0:
	s_load_b32 s2, s[0:1], 0x24
	s_bfe_u32 s4, ttmp6, 0x4000c
	s_and_b32 s3, ttmp6, 15
	s_add_co_i32 s7, s4, 1
	s_load_b64 s[4:5], s[0:1], 0x0
	s_mul_i32 s7, ttmp9, s7
	s_getreg_b32 s6, hwreg(HW_REG_IB_STS2, 6, 4)
	s_add_co_i32 s3, s3, s7
	s_mov_b32 s9, -1
                                        ; implicit-def: $vgpr5
	s_wait_kmcnt 0x0
	s_and_b32 s2, s2, 0xffff
	s_cmp_eq_u32 s6, 0
	s_load_b64 s[6:7], s[0:1], 0x10
	s_cselect_b32 s3, ttmp9, s3
	s_delay_alu instid0(SALU_CYCLE_1) | instskip(NEXT) | instid1(SALU_CYCLE_1)
	s_and_b32 s3, s3, 0xffffff
	v_mad_u32 v4, s3, s2, v0
	global_load_b32 v10, v4, s[4:5] scale_offset
	s_wait_kmcnt 0x0
	s_cvt_f32_u32 s2, s6
	s_sub_co_i32 s3, 0, s6
	s_add_co_i32 s11, s6, -1
	s_delay_alu instid0(SALU_CYCLE_1) | instskip(SKIP_1) | instid1(TRANS32_DEP_1)
	v_rcp_iflag_f32_e32 v0, s2
	v_nop
	v_readfirstlane_b32 s2, v0
	s_mul_f32 s2, s2, 0x4f7ffffe
	s_delay_alu instid0(SALU_CYCLE_3) | instskip(NEXT) | instid1(SALU_CYCLE_3)
	s_cvt_u32_f32 s2, s2
	s_mul_i32 s3, s3, s2
	s_delay_alu instid0(SALU_CYCLE_1) | instskip(NEXT) | instid1(SALU_CYCLE_1)
	s_mul_hi_u32 s3, s2, s3
	s_add_co_i32 s2, s2, s3
	s_add_co_i32 s3, s7, -1
	v_mul_hi_u32 v0, v4, s2
	s_delay_alu instid0(VALU_DEP_1) | instskip(NEXT) | instid1(VALU_DEP_1)
	v_mul_lo_u32 v1, v0, s6
	v_dual_add_nc_u32 v2, 1, v0 :: v_dual_sub_nc_u32 v1, v4, v1
	s_delay_alu instid0(VALU_DEP_1) | instskip(SKIP_1) | instid1(VALU_DEP_2)
	v_subrev_nc_u32_e32 v3, s6, v1
	v_cmp_le_u32_e32 vcc_lo, s6, v1
	v_dual_cndmask_b32 v0, v0, v2 :: v_dual_cndmask_b32 v1, v1, v3
	s_delay_alu instid0(VALU_DEP_1) | instskip(NEXT) | instid1(VALU_DEP_2)
	v_add_nc_u32_e32 v2, 1, v0
	v_cmp_le_u32_e32 vcc_lo, s6, v1
	s_delay_alu instid0(VALU_DEP_2) | instskip(NEXT) | instid1(VALU_DEP_1)
	v_dual_mov_b32 v1, 0 :: v_dual_cndmask_b32 v15, v0, v2, vcc_lo
	v_dual_mov_b32 v6, v1 :: v_dual_mov_b32 v0, v4
	s_delay_alu instid0(VALU_DEP_2) | instskip(SKIP_1) | instid1(VALU_DEP_2)
	v_mul_lo_u32 v3, v15, s6
	v_cmp_gt_i32_e32 vcc_lo, s3, v15
	v_sub_nc_u32_e32 v2, v4, v3
	s_delay_alu instid0(VALU_DEP_1)
	v_cmp_gt_i32_e64 s2, s11, v2
	s_and_b32 s2, vcc_lo, s2
	s_wait_xcnt 0x0
	s_and_saveexec_b32 s8, s2
	s_cbranch_execnz .LBB1_3
; %bb.1:
	s_or_b32 exec_lo, exec_lo, s8
	s_load_b64 s[0:1], s[0:1], 0x8
	s_and_saveexec_b32 s2, s9
	s_cbranch_execnz .LBB1_224
.LBB1_2:
	s_or_b32 exec_lo, exec_lo, s2
	s_wait_kmcnt 0x0
	v_lshl_add_u64 v[0:1], v[0:1], 2, s[0:1]
	global_store_b32 v[0:1], v5, off
	s_endpgm
.LBB1_3:
	v_add_nc_u32_e32 v5, 1, v0
	s_mov_b32 s2, -1
	s_wait_loadcnt 0x0
	s_delay_alu instid0(VALU_DEP_1)
	v_dual_lshrrev_b32 v12, 2, v10 :: v_dual_add_nc_u32 v6, s6, v5
	s_clause 0x1
	global_load_b32 v11, v5, s[4:5] scale_offset
	global_load_b32 v7, v6, s[4:5] scale_offset
	s_wait_xcnt 0x1
	v_dual_lshrrev_b32 v5, 4, v10 :: v_dual_lshrrev_b32 v8, 3, v10
	s_wait_loadcnt 0x1
	s_wait_xcnt 0x0
	v_lshrrev_b32_e32 v6, 6, v11
	s_wait_loadcnt 0x0
	v_dual_lshrrev_b32 v7, 5, v7 :: v_dual_bitop2_b32 v9, 2, v7 bitop3:0x40
	s_delay_alu instid0(VALU_DEP_2) | instskip(NEXT) | instid1(VALU_DEP_2)
	v_and_b32_e32 v5, v5, v6
	v_and_or_b32 v6, v8, 1, v9
	s_delay_alu instid0(VALU_DEP_3) | instskip(SKIP_1) | instid1(VALU_DEP_4)
	v_and_b32_e32 v7, 4, v7
	v_and_b32_e32 v8, 8, v12
	;; [unrolled: 1-line block ×3, first 2 shown]
	s_delay_alu instid0(VALU_DEP_2) | instskip(NEXT) | instid1(VALU_DEP_2)
	v_or3_b32 v12, v6, v8, v7
	v_cmp_eq_u32_e32 vcc_lo, 1, v5
                                        ; implicit-def: $vgpr5
	s_and_saveexec_b32 s9, vcc_lo
	s_cbranch_execz .LBB1_221
; %bb.4:
	v_and_b32_e32 v5, 40, v10
	v_and_b32_e32 v6, 0xa0, v11
	s_mov_b32 s12, 0
	s_delay_alu instid0(VALU_DEP_2) | instskip(NEXT) | instid1(VALU_DEP_2)
	v_cmp_ne_u32_e32 vcc_lo, 0, v5
	v_cmp_ne_u32_e64 s2, 0, v6
                                        ; implicit-def: $vgpr5
	s_and_b32 s2, vcc_lo, s2
	s_delay_alu instid0(SALU_CYCLE_1) | instskip(NEXT) | instid1(SALU_CYCLE_1)
	s_and_saveexec_b32 s10, s2
	s_xor_b32 s2, exec_lo, s10
; %bb.5:
	v_and_or_b32 v5, 0xffffff00, v10, v12
                                        ; implicit-def: $vgpr2
                                        ; implicit-def: $vgpr15
                                        ; implicit-def: $vgpr3
                                        ; implicit-def: $vgpr4
; %bb.6:
	s_and_not1_saveexec_b32 s10, s2
	s_cbranch_execz .LBB1_220
; %bb.7:
	s_add_co_i32 s2, s6, -4
	v_dual_add_nc_u32 v6, 4, v15 :: v_dual_max_i32 v5, 3, v15
	v_cmp_gt_i32_e32 vcc_lo, s2, v15
	v_dual_mov_b32 v13, 0 :: v_dual_mov_b32 v14, 0
	s_delay_alu instid0(VALU_DEP_3) | instskip(SKIP_1) | instid1(VALU_DEP_1)
	v_dual_cndmask_b32 v5, s11, v6 :: v_dual_add_nc_u32 v16, -3, v5
	s_mov_b32 s11, exec_lo
	v_cmpx_le_i32_e64 v16, v5
	s_cbranch_execz .LBB1_21
; %bb.8:
	v_mul_lo_u32 v6, s6, v16
	s_add_co_i32 s2, s7, -4
	v_dual_add_nc_u32 v8, 4, v2 :: v_dual_max_i32 v7, 3, v2
	v_cmp_gt_i32_e32 vcc_lo, s2, v2
	v_bfe_u32 v17, v10, 8, 8
	v_dual_lshrrev_b32 v18, 24, v10 :: v_dual_lshrrev_b32 v21, 24, v11
	v_bfe_u32 v19, v10, 16, 8
	v_bfe_u32 v20, v11, 8, 8
	v_bfe_u32 v23, v11, 16, 8
	v_dual_sub_nc_u32 v9, v0, v6 :: v_dual_add_nc_u32 v14, -3, v7
	v_dual_cndmask_b32 v22, s3, v8 :: v_dual_mov_b32 v13, 0
	s_delay_alu instid0(VALU_DEP_2) | instskip(NEXT) | instid1(VALU_DEP_3)
	v_dual_add_nc_u32 v24, -4, v7 :: v_dual_sub_nc_u32 v8, v9, v7
	v_add_nc_u32_e32 v6, v14, v6
	s_delay_alu instid0(VALU_DEP_3) | instskip(NEXT) | instid1(VALU_DEP_3)
	v_cmp_le_i32_e32 vcc_lo, v14, v22
	v_dual_mov_b32 v14, 0 :: v_dual_add_nc_u32 v25, 4, v8
	s_branch .LBB1_11
.LBB1_9:                                ;   in Loop: Header=BB1_11 Depth=1
	s_or_b32 exec_lo, exec_lo, s14
.LBB1_10:                               ;   in Loop: Header=BB1_11 Depth=1
	s_delay_alu instid0(SALU_CYCLE_1) | instskip(SKIP_3) | instid1(VALU_DEP_3)
	s_or_b32 exec_lo, exec_lo, s13
	v_dual_add_nc_u32 v7, 1, v16 :: v_dual_add_nc_u32 v6, s6, v6
	v_cmp_ge_i32_e64 s2, v16, v5
	v_subrev_nc_u32_e32 v25, s6, v25
	v_mov_b32_e32 v16, v7
	s_or_b32 s12, s2, s12
	s_delay_alu instid0(SALU_CYCLE_1)
	s_and_not1_b32 exec_lo, exec_lo, s12
	s_cbranch_execz .LBB1_20
.LBB1_11:                               ; =>This Loop Header: Depth=1
                                        ;     Child Loop BB1_15 Depth 2
	s_and_saveexec_b32 s13, vcc_lo
	s_cbranch_execz .LBB1_10
; %bb.12:                               ;   in Loop: Header=BB1_11 Depth=1
	s_delay_alu instid0(VALU_DEP_1) | instskip(SKIP_1) | instid1(VALU_DEP_1)
	v_dual_mov_b32 v26, v25 :: v_dual_ashrrev_i32 v7, 31, v6
	s_mov_b32 s14, 0
	v_lshl_add_u64 v[8:9], v[6:7], 2, s[4:5]
	v_mov_b32_e32 v7, v24
	s_branch .LBB1_15
.LBB1_13:                               ;   in Loop: Header=BB1_15 Depth=2
	s_or_b32 exec_lo, exec_lo, s16
	s_delay_alu instid0(VALU_DEP_1)
	v_dual_add_nc_u32 v14, v29, v14 :: v_dual_add_nc_u32 v13, v27, v13
.LBB1_14:                               ;   in Loop: Header=BB1_15 Depth=2
	s_or_b32 exec_lo, exec_lo, s15
	v_add_nc_u32_e32 v7, 1, v7
	v_add_nc_u64_e32 v[8:9], 4, v[8:9]
	s_delay_alu instid0(VALU_DEP_2) | instskip(SKIP_1) | instid1(SALU_CYCLE_1)
	v_cmp_ge_i32_e64 s2, v7, v22
	s_or_b32 s14, s2, s14
	s_and_not1_b32 exec_lo, exec_lo, s14
	s_cbranch_execz .LBB1_9
.LBB1_15:                               ;   Parent Loop BB1_11 Depth=1
                                        ; =>  This Inner Loop Header: Depth=2
	v_cmp_ne_u32_e64 s2, 1, v26
	v_sub_co_u32 v26, s3, v26, 1
	s_xor_b32 s3, s3, -1
	s_delay_alu instid0(SALU_CYCLE_1) | instskip(NEXT) | instid1(SALU_CYCLE_1)
	s_and_b32 s2, s2, s3
	s_and_saveexec_b32 s15, s2
	s_cbranch_execz .LBB1_14
; %bb.16:                               ;   in Loop: Header=BB1_15 Depth=2
	global_load_b32 v29, v[8:9], off
	s_mov_b32 s16, exec_lo
	s_wait_loadcnt 0x0
	v_bfe_u32 v31, v29, 8, 8
	v_bfe_u32 v30, v29, 16, 8
	s_delay_alu instid0(VALU_DEP_2) | instskip(NEXT) | instid1(VALU_DEP_1)
	v_sub_nc_u32_e32 v27, v17, v31
	v_sub_nc_u32_e32 v28, 0, v27
	s_delay_alu instid0(VALU_DEP_1) | instskip(SKIP_1) | instid1(VALU_DEP_2)
	v_dual_mov_b32 v27, 0 :: v_dual_max_i32 v32, v27, v28
	v_dual_mov_b32 v29, 0 :: v_dual_lshrrev_b32 v28, 24, v29
	v_cmpx_gt_u32_e32 49, v32
	s_cbranch_execz .LBB1_18
; %bb.17:                               ;   in Loop: Header=BB1_15 Depth=2
	s_delay_alu instid0(VALU_DEP_2) | instskip(NEXT) | instid1(VALU_DEP_1)
	v_dual_sub_nc_u32 v29, v19, v30 :: v_dual_sub_nc_u32 v32, v18, v28
	v_dual_sub_nc_u32 v33, 0, v29 :: v_dual_sub_nc_u32 v34, 0, v32
	s_delay_alu instid0(VALU_DEP_1) | instskip(NEXT) | instid1(VALU_DEP_2)
	v_max_i32_e32 v29, v29, v33
	v_max_i32_e32 v32, v32, v34
	s_delay_alu instid0(VALU_DEP_2) | instskip(NEXT) | instid1(VALU_DEP_2)
	v_cmp_gt_u32_e64 s2, 8, v29
	v_cmp_gt_u32_e64 s3, 7, v32
	s_and_b32 s2, s2, s3
	s_delay_alu instid0(SALU_CYCLE_1)
	v_cndmask_b32_e64 v29, 0, 1, s2
.LBB1_18:                               ;   in Loop: Header=BB1_15 Depth=2
	s_or_b32 exec_lo, exec_lo, s16
	v_sub_nc_u32_e32 v31, v20, v31
	s_mov_b32 s16, exec_lo
	s_delay_alu instid0(VALU_DEP_1) | instskip(NEXT) | instid1(VALU_DEP_1)
	v_sub_nc_u32_e32 v32, 0, v31
	v_max_i32_e32 v31, v31, v32
	s_delay_alu instid0(VALU_DEP_1)
	v_cmpx_gt_u32_e32 49, v31
	s_cbranch_execz .LBB1_13
; %bb.19:                               ;   in Loop: Header=BB1_15 Depth=2
	v_dual_sub_nc_u32 v27, v23, v30 :: v_dual_sub_nc_u32 v28, v21, v28
	s_delay_alu instid0(VALU_DEP_1) | instskip(NEXT) | instid1(VALU_DEP_1)
	v_dual_sub_nc_u32 v30, 0, v27 :: v_dual_sub_nc_u32 v31, 0, v28
	v_max_i32_e32 v27, v27, v30
	s_delay_alu instid0(VALU_DEP_2) | instskip(NEXT) | instid1(VALU_DEP_2)
	v_max_i32_e32 v28, v28, v31
	v_cmp_gt_u32_e64 s2, 8, v27
	s_delay_alu instid0(VALU_DEP_2) | instskip(SKIP_1) | instid1(SALU_CYCLE_1)
	v_cmp_gt_u32_e64 s3, 7, v28
	s_and_b32 s2, s2, s3
	v_cndmask_b32_e64 v27, 0, 1, s2
	s_branch .LBB1_13
.LBB1_20:
	s_or_b32 exec_lo, exec_lo, s12
.LBB1_21:
	s_delay_alu instid0(SALU_CYCLE_1)
	s_or_b32 exec_lo, exec_lo, s11
	global_load_b32 v5, v4, s[4:5] scale_offset
	s_mul_i32 s3, s7, s6
	s_mov_b32 s11, 1
	s_cmp_gt_i32 s3, 1
	v_mov_b32_e32 v8, 1
	s_cselect_b32 s7, -1, 0
	s_wait_loadcnt 0x0
	v_and_b32_e32 v9, 0xff, v5
	v_ashrrev_i32_e32 v5, 31, v4
	s_delay_alu instid0(VALU_DEP_2) | instskip(NEXT) | instid1(VALU_DEP_1)
	v_bcnt_u32_b32 v6, v9, 0
	v_cmp_eq_u32_e32 vcc_lo, 2, v6
	s_and_b32 s12, vcc_lo, s7
	s_delay_alu instid0(SALU_CYCLE_1)
	s_and_saveexec_b32 s2, s12
	s_cbranch_execz .LBB1_69
; %bb.22:
	v_dual_mov_b32 v16, 16 :: v_dual_mov_b32 v6, v2
	v_mov_b32_e32 v7, v15
	s_mov_b32 s12, 0
	s_branch .LBB1_27
.LBB1_23:                               ;   in Loop: Header=BB1_27 Depth=1
	s_or_b32 exec_lo, exec_lo, s16
.LBB1_24:                               ;   in Loop: Header=BB1_27 Depth=1
	s_delay_alu instid0(SALU_CYCLE_1)
	s_or_b32 exec_lo, exec_lo, s15
.LBB1_25:                               ;   in Loop: Header=BB1_27 Depth=1
	s_delay_alu instid0(SALU_CYCLE_1)
	s_or_b32 exec_lo, exec_lo, s14
.LBB1_26:                               ;   in Loop: Header=BB1_27 Depth=1
	s_delay_alu instid0(SALU_CYCLE_1)
	s_or_b32 exec_lo, exec_lo, s13
	v_mad_u32 v9, v7, s6, v6
	s_add_co_i32 s11, s11, 1
	v_lshrrev_b32_e32 v17, 4, v8
	s_cmp_ge_i32 s11, s3
	s_cselect_b32 s13, -1, 0
	global_load_b32 v9, v9, s[4:5] scale_offset
	s_wait_loadcnt 0x0
	v_and_b32_e32 v9, 0xff, v9
	s_delay_alu instid0(VALU_DEP_1) | instskip(NEXT) | instid1(VALU_DEP_1)
	v_bcnt_u32_b32 v16, v9, 0
	v_cmp_ne_u32_e32 vcc_lo, 2, v16
	v_lshlrev_b32_e32 v16, 4, v8
	s_or_b32 s13, vcc_lo, s13
	v_cmp_lt_u32_e32 vcc_lo, 8, v8
	s_and_b32 s13, exec_lo, s13
	v_mov_b32_e32 v8, s11
	s_or_b32 s12, s13, s12
	v_cndmask_b32_e32 v16, v16, v17, vcc_lo
	s_and_not1_b32 exec_lo, exec_lo, s12
	s_cbranch_execz .LBB1_68
.LBB1_27:                               ; =>This Inner Loop Header: Depth=1
	s_delay_alu instid0(VALU_DEP_1) | instskip(SKIP_1) | instid1(VALU_DEP_1)
	v_sub_nc_u32_e32 v8, v9, v16
	s_mov_b32 s13, exec_lo
	v_cmpx_lt_i32_e32 15, v8
	s_xor_b32 s13, exec_lo, s13
	s_cbranch_execz .LBB1_49
; %bb.28:                               ;   in Loop: Header=BB1_27 Depth=1
	s_mov_b32 s14, exec_lo
	v_cmpx_lt_i32_e32 63, v8
	s_xor_b32 s14, exec_lo, s14
	s_cbranch_execz .LBB1_38
; %bb.29:                               ;   in Loop: Header=BB1_27 Depth=1
	;; [unrolled: 5-line block ×3, first 2 shown]
	s_mov_b32 s16, exec_lo
	v_cmpx_eq_u32_e32 0x80, v8
; %bb.31:                               ;   in Loop: Header=BB1_27 Depth=1
	v_add_nc_u32_e32 v6, -1, v6
; %bb.32:                               ;   in Loop: Header=BB1_27 Depth=1
	s_or_b32 exec_lo, exec_lo, s16
.LBB1_33:                               ;   in Loop: Header=BB1_27 Depth=1
	s_and_not1_saveexec_b32 s15, s15
	s_cbranch_execz .LBB1_37
; %bb.34:                               ;   in Loop: Header=BB1_27 Depth=1
	s_mov_b32 s16, exec_lo
	v_cmpx_eq_u32_e32 64, v8
; %bb.35:                               ;   in Loop: Header=BB1_27 Depth=1
	v_dual_add_nc_u32 v7, 1, v7 :: v_dual_add_nc_u32 v6, -1, v6
; %bb.36:                               ;   in Loop: Header=BB1_27 Depth=1
	s_or_b32 exec_lo, exec_lo, s16
.LBB1_37:                               ;   in Loop: Header=BB1_27 Depth=1
	s_delay_alu instid0(SALU_CYCLE_1)
	s_or_b32 exec_lo, exec_lo, s15
.LBB1_38:                               ;   in Loop: Header=BB1_27 Depth=1
	s_and_not1_saveexec_b32 s14, s14
	s_cbranch_execz .LBB1_48
; %bb.39:                               ;   in Loop: Header=BB1_27 Depth=1
	s_mov_b32 s15, exec_lo
	v_cmpx_lt_i32_e32 31, v8
	s_xor_b32 s15, exec_lo, s15
	s_cbranch_execz .LBB1_43
; %bb.40:                               ;   in Loop: Header=BB1_27 Depth=1
	s_mov_b32 s16, exec_lo
	v_cmpx_eq_u32_e32 32, v8
; %bb.41:                               ;   in Loop: Header=BB1_27 Depth=1
	v_add_nc_u32_e32 v7, 1, v7
; %bb.42:                               ;   in Loop: Header=BB1_27 Depth=1
	s_or_b32 exec_lo, exec_lo, s16
.LBB1_43:                               ;   in Loop: Header=BB1_27 Depth=1
	s_and_not1_saveexec_b32 s15, s15
	s_cbranch_execz .LBB1_47
; %bb.44:                               ;   in Loop: Header=BB1_27 Depth=1
	s_mov_b32 s16, exec_lo
	v_cmpx_eq_u32_e32 16, v8
; %bb.45:                               ;   in Loop: Header=BB1_27 Depth=1
	v_dual_add_nc_u32 v7, 1, v7 :: v_dual_add_nc_u32 v6, 1, v6
; %bb.46:                               ;   in Loop: Header=BB1_27 Depth=1
	s_or_b32 exec_lo, exec_lo, s16
.LBB1_47:                               ;   in Loop: Header=BB1_27 Depth=1
	s_delay_alu instid0(SALU_CYCLE_1)
	s_or_b32 exec_lo, exec_lo, s15
.LBB1_48:                               ;   in Loop: Header=BB1_27 Depth=1
	s_delay_alu instid0(SALU_CYCLE_1)
	s_or_b32 exec_lo, exec_lo, s14
.LBB1_49:                               ;   in Loop: Header=BB1_27 Depth=1
	s_and_not1_saveexec_b32 s13, s13
	s_cbranch_execz .LBB1_26
; %bb.50:                               ;   in Loop: Header=BB1_27 Depth=1
	s_mov_b32 s14, exec_lo
	v_cmpx_lt_i32_e32 3, v8
	s_xor_b32 s14, exec_lo, s14
	s_cbranch_execz .LBB1_60
; %bb.51:                               ;   in Loop: Header=BB1_27 Depth=1
	s_mov_b32 s15, exec_lo
	v_cmpx_lt_i32_e32 7, v8
	s_xor_b32 s15, exec_lo, s15
	s_cbranch_execz .LBB1_55
; %bb.52:                               ;   in Loop: Header=BB1_27 Depth=1
	s_mov_b32 s16, exec_lo
	v_cmpx_eq_u32_e32 8, v8
; %bb.53:                               ;   in Loop: Header=BB1_27 Depth=1
	v_add_nc_u32_e32 v6, 1, v6
; %bb.54:                               ;   in Loop: Header=BB1_27 Depth=1
	s_or_b32 exec_lo, exec_lo, s16
.LBB1_55:                               ;   in Loop: Header=BB1_27 Depth=1
	s_and_not1_saveexec_b32 s15, s15
	s_cbranch_execz .LBB1_59
; %bb.56:                               ;   in Loop: Header=BB1_27 Depth=1
	s_mov_b32 s16, exec_lo
	v_cmpx_eq_u32_e32 4, v8
; %bb.57:                               ;   in Loop: Header=BB1_27 Depth=1
	v_dual_add_nc_u32 v7, -1, v7 :: v_dual_add_nc_u32 v6, 1, v6
; %bb.58:                               ;   in Loop: Header=BB1_27 Depth=1
	s_or_b32 exec_lo, exec_lo, s16
.LBB1_59:                               ;   in Loop: Header=BB1_27 Depth=1
	s_delay_alu instid0(SALU_CYCLE_1)
	s_or_b32 exec_lo, exec_lo, s15
.LBB1_60:                               ;   in Loop: Header=BB1_27 Depth=1
	s_and_not1_saveexec_b32 s14, s14
	s_cbranch_execz .LBB1_25
; %bb.61:                               ;   in Loop: Header=BB1_27 Depth=1
	s_mov_b32 s15, exec_lo
	v_cmpx_lt_i32_e32 1, v8
	s_xor_b32 s15, exec_lo, s15
	s_cbranch_execz .LBB1_65
; %bb.62:                               ;   in Loop: Header=BB1_27 Depth=1
	s_mov_b32 s16, exec_lo
	v_cmpx_eq_u32_e32 2, v8
; %bb.63:                               ;   in Loop: Header=BB1_27 Depth=1
	v_add_nc_u32_e32 v7, -1, v7
; %bb.64:                               ;   in Loop: Header=BB1_27 Depth=1
	s_or_b32 exec_lo, exec_lo, s16
.LBB1_65:                               ;   in Loop: Header=BB1_27 Depth=1
	s_and_not1_saveexec_b32 s15, s15
	s_cbranch_execz .LBB1_24
; %bb.66:                               ;   in Loop: Header=BB1_27 Depth=1
	s_mov_b32 s16, exec_lo
	v_cmpx_eq_u32_e32 1, v8
	s_cbranch_execz .LBB1_23
; %bb.67:                               ;   in Loop: Header=BB1_27 Depth=1
	v_dual_add_nc_u32 v7, -1, v7 :: v_dual_add_nc_u32 v6, -1, v6
	s_branch .LBB1_23
.LBB1_68:
	s_or_b32 exec_lo, exec_lo, s12
.LBB1_69:
	s_delay_alu instid0(SALU_CYCLE_1) | instskip(SKIP_3) | instid1(VALU_DEP_2)
	s_or_b32 exec_lo, exec_lo, s2
	v_lshl_add_u64 v[6:7], v[4:5], 2, s[4:5]
	v_dual_add_nc_u32 v4, s6, v3 :: v_dual_ashrrev_i32 v3, 31, v2
	v_cmp_gt_i32_e64 s2, s3, v8
	v_ashrrev_i32_e32 v5, 31, v4
	s_delay_alu instid0(VALU_DEP_1) | instskip(SKIP_1) | instid1(VALU_DEP_2)
	v_add_nc_u64_e32 v[16:17], v[4:5], v[2:3]
	v_add_nc_u32_e32 v5, 1, v2
	v_lshl_add_u64 v[16:17], v[16:17], 2, s[4:5]
	global_load_b32 v3, v[16:17], off offset:4
	s_wait_loadcnt 0x0
	v_and_b32_e32 v18, 0xff, v3
	s_delay_alu instid0(VALU_DEP_1) | instskip(NEXT) | instid1(VALU_DEP_1)
	v_bcnt_u32_b32 v3, v18, 0
	v_cmp_eq_u32_e32 vcc_lo, 2, v3
	v_add_nc_u32_e32 v3, 1, v15
	s_and_b32 s2, vcc_lo, s2
	s_delay_alu instid0(SALU_CYCLE_1)
	s_and_saveexec_b32 s11, s2
	s_cbranch_execz .LBB1_117
; %bb.70:
	v_dual_mov_b32 v17, 1 :: v_dual_mov_b32 v9, v5
	v_mov_b32_e32 v16, v3
	s_mov_b32 s12, 0
	s_branch .LBB1_75
.LBB1_71:                               ;   in Loop: Header=BB1_75 Depth=1
	s_or_b32 exec_lo, exec_lo, s15
.LBB1_72:                               ;   in Loop: Header=BB1_75 Depth=1
	s_delay_alu instid0(SALU_CYCLE_1)
	s_or_b32 exec_lo, exec_lo, s14
.LBB1_73:                               ;   in Loop: Header=BB1_75 Depth=1
	s_delay_alu instid0(SALU_CYCLE_1)
	s_or_b32 exec_lo, exec_lo, s13
.LBB1_74:                               ;   in Loop: Header=BB1_75 Depth=1
	s_delay_alu instid0(SALU_CYCLE_1)
	s_or_b32 exec_lo, exec_lo, s2
	v_mad_u32 v18, v16, s6, v9
	v_dual_add_nc_u32 v8, 1, v8 :: v_dual_lshlrev_b32 v20, 4, v17
	global_load_b32 v18, v18, s[4:5] scale_offset
	s_wait_loadcnt 0x0
	v_and_b32_e32 v18, 0xff, v18
	s_delay_alu instid0(VALU_DEP_1) | instskip(NEXT) | instid1(VALU_DEP_1)
	v_bcnt_u32_b32 v19, v18, 0
	v_cmp_ne_u32_e64 s2, 2, v19
	v_lshrrev_b32_e32 v19, 4, v17
	v_cmp_le_i32_e32 vcc_lo, s3, v8
	s_or_b32 s2, s2, vcc_lo
	v_cmp_lt_u32_e32 vcc_lo, 8, v17
	s_and_b32 s2, exec_lo, s2
	s_delay_alu instid0(SALU_CYCLE_1)
	s_or_b32 s12, s2, s12
	v_cndmask_b32_e32 v17, v20, v19, vcc_lo
	s_and_not1_b32 exec_lo, exec_lo, s12
	s_cbranch_execz .LBB1_116
.LBB1_75:                               ; =>This Inner Loop Header: Depth=1
	s_delay_alu instid0(VALU_DEP_1) | instskip(SKIP_1) | instid1(VALU_DEP_1)
	v_sub_nc_u32_e32 v17, v18, v17
	s_mov_b32 s2, exec_lo
	v_cmpx_lt_i32_e32 15, v17
	s_xor_b32 s2, exec_lo, s2
	s_cbranch_execz .LBB1_97
; %bb.76:                               ;   in Loop: Header=BB1_75 Depth=1
	s_mov_b32 s13, exec_lo
	v_cmpx_lt_i32_e32 63, v17
	s_xor_b32 s13, exec_lo, s13
	s_cbranch_execz .LBB1_86
; %bb.77:                               ;   in Loop: Header=BB1_75 Depth=1
	;; [unrolled: 5-line block ×3, first 2 shown]
	s_mov_b32 s15, exec_lo
	v_cmpx_eq_u32_e32 0x80, v17
; %bb.79:                               ;   in Loop: Header=BB1_75 Depth=1
	v_add_nc_u32_e32 v9, -1, v9
; %bb.80:                               ;   in Loop: Header=BB1_75 Depth=1
	s_or_b32 exec_lo, exec_lo, s15
.LBB1_81:                               ;   in Loop: Header=BB1_75 Depth=1
	s_and_not1_saveexec_b32 s14, s14
	s_cbranch_execz .LBB1_85
; %bb.82:                               ;   in Loop: Header=BB1_75 Depth=1
	s_mov_b32 s15, exec_lo
	v_cmpx_eq_u32_e32 64, v17
; %bb.83:                               ;   in Loop: Header=BB1_75 Depth=1
	v_dual_add_nc_u32 v16, 1, v16 :: v_dual_add_nc_u32 v9, -1, v9
; %bb.84:                               ;   in Loop: Header=BB1_75 Depth=1
	s_or_b32 exec_lo, exec_lo, s15
.LBB1_85:                               ;   in Loop: Header=BB1_75 Depth=1
	s_delay_alu instid0(SALU_CYCLE_1)
	s_or_b32 exec_lo, exec_lo, s14
.LBB1_86:                               ;   in Loop: Header=BB1_75 Depth=1
	s_and_not1_saveexec_b32 s13, s13
	s_cbranch_execz .LBB1_96
; %bb.87:                               ;   in Loop: Header=BB1_75 Depth=1
	s_mov_b32 s14, exec_lo
	v_cmpx_lt_i32_e32 31, v17
	s_xor_b32 s14, exec_lo, s14
	s_cbranch_execz .LBB1_91
; %bb.88:                               ;   in Loop: Header=BB1_75 Depth=1
	s_mov_b32 s15, exec_lo
	v_cmpx_eq_u32_e32 32, v17
; %bb.89:                               ;   in Loop: Header=BB1_75 Depth=1
	v_add_nc_u32_e32 v16, 1, v16
; %bb.90:                               ;   in Loop: Header=BB1_75 Depth=1
	s_or_b32 exec_lo, exec_lo, s15
.LBB1_91:                               ;   in Loop: Header=BB1_75 Depth=1
	s_and_not1_saveexec_b32 s14, s14
	s_cbranch_execz .LBB1_95
; %bb.92:                               ;   in Loop: Header=BB1_75 Depth=1
	s_mov_b32 s15, exec_lo
	v_cmpx_eq_u32_e32 16, v17
; %bb.93:                               ;   in Loop: Header=BB1_75 Depth=1
	v_dual_add_nc_u32 v16, 1, v16 :: v_dual_add_nc_u32 v9, 1, v9
; %bb.94:                               ;   in Loop: Header=BB1_75 Depth=1
	s_or_b32 exec_lo, exec_lo, s15
.LBB1_95:                               ;   in Loop: Header=BB1_75 Depth=1
	s_delay_alu instid0(SALU_CYCLE_1)
	s_or_b32 exec_lo, exec_lo, s14
.LBB1_96:                               ;   in Loop: Header=BB1_75 Depth=1
	s_delay_alu instid0(SALU_CYCLE_1)
	s_or_b32 exec_lo, exec_lo, s13
.LBB1_97:                               ;   in Loop: Header=BB1_75 Depth=1
	s_and_not1_saveexec_b32 s2, s2
	s_cbranch_execz .LBB1_74
; %bb.98:                               ;   in Loop: Header=BB1_75 Depth=1
	s_mov_b32 s13, exec_lo
	v_cmpx_lt_i32_e32 3, v17
	s_xor_b32 s13, exec_lo, s13
	s_cbranch_execz .LBB1_108
; %bb.99:                               ;   in Loop: Header=BB1_75 Depth=1
	s_mov_b32 s14, exec_lo
	v_cmpx_lt_i32_e32 7, v17
	s_xor_b32 s14, exec_lo, s14
	s_cbranch_execz .LBB1_103
; %bb.100:                              ;   in Loop: Header=BB1_75 Depth=1
	s_mov_b32 s15, exec_lo
	v_cmpx_eq_u32_e32 8, v17
; %bb.101:                              ;   in Loop: Header=BB1_75 Depth=1
	v_add_nc_u32_e32 v9, 1, v9
; %bb.102:                              ;   in Loop: Header=BB1_75 Depth=1
	s_or_b32 exec_lo, exec_lo, s15
.LBB1_103:                              ;   in Loop: Header=BB1_75 Depth=1
	s_and_not1_saveexec_b32 s14, s14
	s_cbranch_execz .LBB1_107
; %bb.104:                              ;   in Loop: Header=BB1_75 Depth=1
	s_mov_b32 s15, exec_lo
	v_cmpx_eq_u32_e32 4, v17
; %bb.105:                              ;   in Loop: Header=BB1_75 Depth=1
	v_dual_add_nc_u32 v16, -1, v16 :: v_dual_add_nc_u32 v9, 1, v9
; %bb.106:                              ;   in Loop: Header=BB1_75 Depth=1
	s_or_b32 exec_lo, exec_lo, s15
.LBB1_107:                              ;   in Loop: Header=BB1_75 Depth=1
	s_delay_alu instid0(SALU_CYCLE_1)
	s_or_b32 exec_lo, exec_lo, s14
.LBB1_108:                              ;   in Loop: Header=BB1_75 Depth=1
	s_and_not1_saveexec_b32 s13, s13
	s_cbranch_execz .LBB1_73
; %bb.109:                              ;   in Loop: Header=BB1_75 Depth=1
	s_mov_b32 s14, exec_lo
	v_cmpx_lt_i32_e32 1, v17
	s_xor_b32 s14, exec_lo, s14
	s_cbranch_execz .LBB1_113
; %bb.110:                              ;   in Loop: Header=BB1_75 Depth=1
	s_mov_b32 s15, exec_lo
	v_cmpx_eq_u32_e32 2, v17
; %bb.111:                              ;   in Loop: Header=BB1_75 Depth=1
	v_add_nc_u32_e32 v16, -1, v16
; %bb.112:                              ;   in Loop: Header=BB1_75 Depth=1
	s_or_b32 exec_lo, exec_lo, s15
.LBB1_113:                              ;   in Loop: Header=BB1_75 Depth=1
	s_and_not1_saveexec_b32 s14, s14
	s_cbranch_execz .LBB1_72
; %bb.114:                              ;   in Loop: Header=BB1_75 Depth=1
	s_mov_b32 s15, exec_lo
	v_cmpx_eq_u32_e32 1, v17
	s_cbranch_execz .LBB1_71
; %bb.115:                              ;   in Loop: Header=BB1_75 Depth=1
	v_dual_add_nc_u32 v16, -1, v16 :: v_dual_add_nc_u32 v9, -1, v9
	s_branch .LBB1_71
.LBB1_116:
	s_or_b32 exec_lo, exec_lo, s12
.LBB1_117:
	s_delay_alu instid0(SALU_CYCLE_1) | instskip(SKIP_3) | instid1(VALU_DEP_1)
	s_or_b32 exec_lo, exec_lo, s11
	global_load_b32 v6, v[6:7], off offset:4
	s_wait_loadcnt 0x0
	v_and_b32_e32 v7, 0xff, v6
	v_bcnt_u32_b32 v6, v7, 0
	s_delay_alu instid0(VALU_DEP_1) | instskip(SKIP_2) | instid1(SALU_CYCLE_1)
	v_cmp_eq_u32_e32 vcc_lo, 2, v6
	v_mov_b32_e32 v6, 1
	s_and_b32 s7, vcc_lo, s7
	s_and_saveexec_b32 s2, s7
	s_cbranch_execz .LBB1_165
; %bb.118:
	v_mov_b32_e32 v9, 64
	s_mov_b32 s11, 1
	s_mov_b32 s7, 0
	s_branch .LBB1_120
.LBB1_119:                              ;   in Loop: Header=BB1_120 Depth=1
	s_or_b32 exec_lo, exec_lo, s13
	s_delay_alu instid0(VALU_DEP_1)
	v_mad_u32 v7, v15, s6, v5
	s_add_co_i32 s11, s11, 1
	v_lshrrev_b32_e32 v16, 4, v6
	s_cmp_ge_i32 s11, s3
	s_cselect_b32 s12, -1, 0
	global_load_b32 v7, v7, s[4:5] scale_offset
	s_wait_loadcnt 0x0
	v_and_b32_e32 v7, 0xff, v7
	s_delay_alu instid0(VALU_DEP_1) | instskip(NEXT) | instid1(VALU_DEP_1)
	v_bcnt_u32_b32 v9, v7, 0
	v_cmp_ne_u32_e32 vcc_lo, 2, v9
	v_lshlrev_b32_e32 v9, 4, v6
	s_or_b32 s12, vcc_lo, s12
	v_cmp_lt_u32_e32 vcc_lo, 8, v6
	s_and_b32 s12, exec_lo, s12
	v_mov_b32_e32 v6, s11
	s_or_b32 s7, s12, s7
	v_cndmask_b32_e32 v9, v9, v16, vcc_lo
	s_and_not1_b32 exec_lo, exec_lo, s7
	s_cbranch_execz .LBB1_164
.LBB1_120:                              ; =>This Inner Loop Header: Depth=1
	s_delay_alu instid0(VALU_DEP_1) | instskip(SKIP_2) | instid1(VALU_DEP_1)
	v_sub_nc_u32_e32 v6, v7, v9
	s_mov_b32 s12, 0
	s_mov_b32 s13, exec_lo
                                        ; implicit-def: $vgpr7
                                        ; implicit-def: $vgpr9
	v_cmpx_lt_i32_e32 15, v6
	s_xor_b32 s13, exec_lo, s13
	s_cbranch_execnz .LBB1_123
; %bb.121:                              ;   in Loop: Header=BB1_120 Depth=1
	s_and_not1_saveexec_b32 s13, s13
	s_cbranch_execnz .LBB1_144
.LBB1_122:                              ;   in Loop: Header=BB1_120 Depth=1
	s_or_b32 exec_lo, exec_lo, s13
	s_and_saveexec_b32 s13, s12
	s_cbranch_execz .LBB1_119
	s_branch .LBB1_163
.LBB1_123:                              ;   in Loop: Header=BB1_120 Depth=1
	s_mov_b32 s14, exec_lo
                                        ; implicit-def: $vgpr7
                                        ; implicit-def: $vgpr9
	v_cmpx_lt_i32_e32 63, v6
	s_xor_b32 s14, exec_lo, s14
	s_cbranch_execz .LBB1_133
; %bb.124:                              ;   in Loop: Header=BB1_120 Depth=1
	s_mov_b32 s12, exec_lo
	v_cmpx_lt_i32_e32 0x7f, v6
	s_xor_b32 s12, exec_lo, s12
	s_cbranch_execz .LBB1_128
; %bb.125:                              ;   in Loop: Header=BB1_120 Depth=1
	s_mov_b32 s15, exec_lo
	v_cmpx_eq_u32_e32 0x80, v6
; %bb.126:                              ;   in Loop: Header=BB1_120 Depth=1
	v_add_nc_u32_e32 v5, -1, v5
; %bb.127:                              ;   in Loop: Header=BB1_120 Depth=1
	s_or_b32 exec_lo, exec_lo, s15
.LBB1_128:                              ;   in Loop: Header=BB1_120 Depth=1
	s_or_saveexec_b32 s12, s12
	s_mov_b32 s15, 0
                                        ; implicit-def: $vgpr7
                                        ; implicit-def: $vgpr9
	s_xor_b32 exec_lo, exec_lo, s12
	s_cbranch_execz .LBB1_132
; %bb.129:                              ;   in Loop: Header=BB1_120 Depth=1
	s_mov_b32 s16, exec_lo
                                        ; implicit-def: $vgpr7
                                        ; implicit-def: $vgpr9
	v_cmpx_eq_u32_e32 64, v6
; %bb.130:                              ;   in Loop: Header=BB1_120 Depth=1
	s_mov_b32 s15, exec_lo
	v_dual_add_nc_u32 v9, 1, v15 :: v_dual_add_nc_u32 v7, -1, v5
; %bb.131:                              ;   in Loop: Header=BB1_120 Depth=1
	s_or_b32 exec_lo, exec_lo, s16
	s_delay_alu instid0(SALU_CYCLE_1)
	s_and_b32 s15, s15, exec_lo
.LBB1_132:                              ;   in Loop: Header=BB1_120 Depth=1
	s_or_b32 exec_lo, exec_lo, s12
	s_delay_alu instid0(SALU_CYCLE_1)
	s_and_b32 s12, s15, exec_lo
.LBB1_133:                              ;   in Loop: Header=BB1_120 Depth=1
	s_and_not1_saveexec_b32 s14, s14
	s_cbranch_execz .LBB1_143
; %bb.134:                              ;   in Loop: Header=BB1_120 Depth=1
	s_mov_b32 s15, exec_lo
	v_cmpx_lt_i32_e32 31, v6
	s_xor_b32 s15, exec_lo, s15
	s_cbranch_execz .LBB1_138
; %bb.135:                              ;   in Loop: Header=BB1_120 Depth=1
	s_mov_b32 s16, exec_lo
	v_cmpx_eq_u32_e32 32, v6
; %bb.136:                              ;   in Loop: Header=BB1_120 Depth=1
	v_add_nc_u32_e32 v15, 1, v15
; %bb.137:                              ;   in Loop: Header=BB1_120 Depth=1
	s_or_b32 exec_lo, exec_lo, s16
.LBB1_138:                              ;   in Loop: Header=BB1_120 Depth=1
	s_and_not1_saveexec_b32 s15, s15
	s_cbranch_execz .LBB1_142
; %bb.139:                              ;   in Loop: Header=BB1_120 Depth=1
	s_mov_b32 s16, exec_lo
	v_cmpx_eq_u32_e32 16, v6
; %bb.140:                              ;   in Loop: Header=BB1_120 Depth=1
	v_dual_add_nc_u32 v15, 1, v15 :: v_dual_add_nc_u32 v5, 1, v5
; %bb.141:                              ;   in Loop: Header=BB1_120 Depth=1
	s_or_b32 exec_lo, exec_lo, s16
.LBB1_142:                              ;   in Loop: Header=BB1_120 Depth=1
	s_delay_alu instid0(SALU_CYCLE_1)
	s_or_b32 exec_lo, exec_lo, s15
.LBB1_143:                              ;   in Loop: Header=BB1_120 Depth=1
	s_delay_alu instid0(SALU_CYCLE_1) | instskip(NEXT) | instid1(SALU_CYCLE_1)
	s_or_b32 exec_lo, exec_lo, s14
	s_and_b32 s12, s12, exec_lo
	s_and_not1_saveexec_b32 s13, s13
	s_cbranch_execz .LBB1_122
.LBB1_144:                              ;   in Loop: Header=BB1_120 Depth=1
	s_mov_b32 s14, exec_lo
                                        ; implicit-def: $vgpr17
                                        ; implicit-def: $vgpr16
	v_cmpx_lt_i32_e32 3, v6
	s_xor_b32 s14, exec_lo, s14
	s_cbranch_execz .LBB1_154
; %bb.145:                              ;   in Loop: Header=BB1_120 Depth=1
	s_mov_b32 s15, exec_lo
                                        ; implicit-def: $vgpr17
	v_cmpx_lt_i32_e32 7, v6
	s_xor_b32 s15, exec_lo, s15
	s_cbranch_execz .LBB1_149
; %bb.146:                              ;   in Loop: Header=BB1_120 Depth=1
	v_mov_b32_e32 v17, v5
	s_mov_b32 s16, exec_lo
	v_cmpx_eq_u32_e32 8, v6
; %bb.147:                              ;   in Loop: Header=BB1_120 Depth=1
	v_add_nc_u32_e32 v17, 1, v5
; %bb.148:                              ;   in Loop: Header=BB1_120 Depth=1
	s_or_b32 exec_lo, exec_lo, s16
.LBB1_149:                              ;   in Loop: Header=BB1_120 Depth=1
	s_or_saveexec_b32 s15, s15
	v_mov_b32_e32 v16, v15
	s_xor_b32 exec_lo, exec_lo, s15
	s_cbranch_execz .LBB1_153
; %bb.150:                              ;   in Loop: Header=BB1_120 Depth=1
	v_dual_mov_b32 v17, v5 :: v_dual_mov_b32 v16, v15
	s_mov_b32 s16, exec_lo
	v_cmpx_eq_u32_e32 4, v6
; %bb.151:                              ;   in Loop: Header=BB1_120 Depth=1
	v_dual_add_nc_u32 v16, -1, v15 :: v_dual_add_nc_u32 v17, 1, v5
; %bb.152:                              ;   in Loop: Header=BB1_120 Depth=1
	s_or_b32 exec_lo, exec_lo, s16
.LBB1_153:                              ;   in Loop: Header=BB1_120 Depth=1
	s_delay_alu instid0(SALU_CYCLE_1)
	s_or_b32 exec_lo, exec_lo, s15
.LBB1_154:                              ;   in Loop: Header=BB1_120 Depth=1
	s_or_saveexec_b32 s14, s14
	s_mov_b32 s15, s12
	s_xor_b32 exec_lo, exec_lo, s14
	s_cbranch_execz .LBB1_162
; %bb.155:                              ;   in Loop: Header=BB1_120 Depth=1
	s_mov_b32 s15, exec_lo
                                        ; implicit-def: $vgpr16
	v_cmpx_lt_i32_e32 1, v6
	s_xor_b32 s15, exec_lo, s15
	s_cbranch_execz .LBB1_159
; %bb.156:                              ;   in Loop: Header=BB1_120 Depth=1
	v_mov_b32_e32 v16, v15
	s_mov_b32 s16, exec_lo
	v_cmpx_eq_u32_e32 2, v6
; %bb.157:                              ;   in Loop: Header=BB1_120 Depth=1
	v_add_nc_u32_e32 v16, -1, v15
; %bb.158:                              ;   in Loop: Header=BB1_120 Depth=1
	s_or_b32 exec_lo, exec_lo, s16
.LBB1_159:                              ;   in Loop: Header=BB1_120 Depth=1
	s_or_saveexec_b32 s15, s15
	s_mov_b32 s16, s12
	s_xor_b32 exec_lo, exec_lo, s15
; %bb.160:                              ;   in Loop: Header=BB1_120 Depth=1
	v_cmp_eq_u32_e32 vcc_lo, 1, v6
	v_mov_b32_e32 v16, v15
	s_and_not1_b32 s16, s12, exec_lo
	s_and_b32 s17, vcc_lo, exec_lo
	s_delay_alu instid0(SALU_CYCLE_1)
	s_or_b32 s16, s16, s17
; %bb.161:                              ;   in Loop: Header=BB1_120 Depth=1
	s_or_b32 exec_lo, exec_lo, s15
	v_mov_b32_e32 v17, v5
	s_and_not1_b32 s15, s12, exec_lo
	s_and_b32 s16, s16, exec_lo
	s_delay_alu instid0(SALU_CYCLE_1)
	s_or_b32 s15, s15, s16
.LBB1_162:                              ;   in Loop: Header=BB1_120 Depth=1
	s_or_b32 exec_lo, exec_lo, s14
	v_dual_mov_b32 v7, v5 :: v_dual_mov_b32 v9, v15
	v_dual_mov_b32 v5, v17 :: v_dual_mov_b32 v15, v16
	s_and_not1_b32 s12, s12, exec_lo
	s_and_b32 s14, s15, exec_lo
	s_delay_alu instid0(SALU_CYCLE_1)
	s_or_b32 s12, s12, s14
	s_or_b32 exec_lo, exec_lo, s13
	s_and_saveexec_b32 s13, s12
	s_cbranch_execz .LBB1_119
.LBB1_163:                              ;   in Loop: Header=BB1_120 Depth=1
	v_dual_add_nc_u32 v15, -1, v9 :: v_dual_add_nc_u32 v5, -1, v7
	s_branch .LBB1_119
.LBB1_164:
	s_or_b32 exec_lo, exec_lo, s7
.LBB1_165:
	s_delay_alu instid0(SALU_CYCLE_1)
	s_or_b32 exec_lo, exec_lo, s2
	v_add_nc_u32_e32 v4, v4, v2
	v_cmp_gt_i32_e64 s2, s3, v6
	global_load_b32 v4, v4, s[4:5] scale_offset
	s_wait_loadcnt 0x0
	v_and_b32_e32 v5, 0xff, v4
	s_delay_alu instid0(VALU_DEP_1) | instskip(NEXT) | instid1(VALU_DEP_1)
	v_bcnt_u32_b32 v4, v5, 0
	v_cmp_eq_u32_e32 vcc_lo, 2, v4
	s_and_b32 s2, vcc_lo, s2
	s_delay_alu instid0(SALU_CYCLE_1)
	s_and_saveexec_b32 s7, s2
	s_cbranch_execz .LBB1_213
; %bb.166:
	v_mov_b32_e32 v4, 4
	s_mov_b32 s11, 0
	s_branch .LBB1_171
.LBB1_167:                              ;   in Loop: Header=BB1_171 Depth=1
	s_or_b32 exec_lo, exec_lo, s14
.LBB1_168:                              ;   in Loop: Header=BB1_171 Depth=1
	s_delay_alu instid0(SALU_CYCLE_1)
	s_or_b32 exec_lo, exec_lo, s13
.LBB1_169:                              ;   in Loop: Header=BB1_171 Depth=1
	s_delay_alu instid0(SALU_CYCLE_1)
	s_or_b32 exec_lo, exec_lo, s12
.LBB1_170:                              ;   in Loop: Header=BB1_171 Depth=1
	s_delay_alu instid0(SALU_CYCLE_1)
	s_or_b32 exec_lo, exec_lo, s2
	v_mad_u32 v5, v3, s6, v2
	v_dual_add_nc_u32 v6, 1, v6 :: v_dual_lshlrev_b32 v9, 4, v4
	global_load_b32 v5, v5, s[4:5] scale_offset
	s_wait_loadcnt 0x0
	v_and_b32_e32 v5, 0xff, v5
	s_delay_alu instid0(VALU_DEP_1) | instskip(NEXT) | instid1(VALU_DEP_1)
	v_bcnt_u32_b32 v7, v5, 0
	v_cmp_ne_u32_e64 s2, 2, v7
	v_lshrrev_b32_e32 v7, 4, v4
	v_cmp_le_i32_e32 vcc_lo, s3, v6
	s_or_b32 s2, s2, vcc_lo
	v_cmp_lt_u32_e32 vcc_lo, 8, v4
	s_and_b32 s2, exec_lo, s2
	s_delay_alu instid0(SALU_CYCLE_1)
	s_or_b32 s11, s2, s11
	v_cndmask_b32_e32 v4, v9, v7, vcc_lo
	s_and_not1_b32 exec_lo, exec_lo, s11
	s_cbranch_execz .LBB1_212
.LBB1_171:                              ; =>This Inner Loop Header: Depth=1
	s_delay_alu instid0(VALU_DEP_1) | instskip(SKIP_1) | instid1(VALU_DEP_1)
	v_sub_nc_u32_e32 v4, v5, v4
	s_mov_b32 s2, exec_lo
	v_cmpx_lt_i32_e32 15, v4
	s_xor_b32 s2, exec_lo, s2
	s_cbranch_execz .LBB1_193
; %bb.172:                              ;   in Loop: Header=BB1_171 Depth=1
	s_mov_b32 s12, exec_lo
	v_cmpx_lt_i32_e32 63, v4
	s_xor_b32 s12, exec_lo, s12
	s_cbranch_execz .LBB1_182
; %bb.173:                              ;   in Loop: Header=BB1_171 Depth=1
	;; [unrolled: 5-line block ×3, first 2 shown]
	s_mov_b32 s14, exec_lo
	v_cmpx_eq_u32_e32 0x80, v4
; %bb.175:                              ;   in Loop: Header=BB1_171 Depth=1
	v_add_nc_u32_e32 v2, -1, v2
; %bb.176:                              ;   in Loop: Header=BB1_171 Depth=1
	s_or_b32 exec_lo, exec_lo, s14
.LBB1_177:                              ;   in Loop: Header=BB1_171 Depth=1
	s_and_not1_saveexec_b32 s13, s13
	s_cbranch_execz .LBB1_181
; %bb.178:                              ;   in Loop: Header=BB1_171 Depth=1
	s_mov_b32 s14, exec_lo
	v_cmpx_eq_u32_e32 64, v4
; %bb.179:                              ;   in Loop: Header=BB1_171 Depth=1
	v_dual_add_nc_u32 v3, 1, v3 :: v_dual_add_nc_u32 v2, -1, v2
; %bb.180:                              ;   in Loop: Header=BB1_171 Depth=1
	s_or_b32 exec_lo, exec_lo, s14
.LBB1_181:                              ;   in Loop: Header=BB1_171 Depth=1
	s_delay_alu instid0(SALU_CYCLE_1)
	s_or_b32 exec_lo, exec_lo, s13
.LBB1_182:                              ;   in Loop: Header=BB1_171 Depth=1
	s_and_not1_saveexec_b32 s12, s12
	s_cbranch_execz .LBB1_192
; %bb.183:                              ;   in Loop: Header=BB1_171 Depth=1
	s_mov_b32 s13, exec_lo
	v_cmpx_lt_i32_e32 31, v4
	s_xor_b32 s13, exec_lo, s13
	s_cbranch_execz .LBB1_187
; %bb.184:                              ;   in Loop: Header=BB1_171 Depth=1
	s_mov_b32 s14, exec_lo
	v_cmpx_eq_u32_e32 32, v4
; %bb.185:                              ;   in Loop: Header=BB1_171 Depth=1
	v_add_nc_u32_e32 v3, 1, v3
; %bb.186:                              ;   in Loop: Header=BB1_171 Depth=1
	s_or_b32 exec_lo, exec_lo, s14
.LBB1_187:                              ;   in Loop: Header=BB1_171 Depth=1
	s_and_not1_saveexec_b32 s13, s13
	s_cbranch_execz .LBB1_191
; %bb.188:                              ;   in Loop: Header=BB1_171 Depth=1
	s_mov_b32 s14, exec_lo
	v_cmpx_eq_u32_e32 16, v4
; %bb.189:                              ;   in Loop: Header=BB1_171 Depth=1
	v_dual_add_nc_u32 v3, 1, v3 :: v_dual_add_nc_u32 v2, 1, v2
; %bb.190:                              ;   in Loop: Header=BB1_171 Depth=1
	s_or_b32 exec_lo, exec_lo, s14
.LBB1_191:                              ;   in Loop: Header=BB1_171 Depth=1
	s_delay_alu instid0(SALU_CYCLE_1)
	s_or_b32 exec_lo, exec_lo, s13
.LBB1_192:                              ;   in Loop: Header=BB1_171 Depth=1
	s_delay_alu instid0(SALU_CYCLE_1)
	s_or_b32 exec_lo, exec_lo, s12
.LBB1_193:                              ;   in Loop: Header=BB1_171 Depth=1
	s_and_not1_saveexec_b32 s2, s2
	s_cbranch_execz .LBB1_170
; %bb.194:                              ;   in Loop: Header=BB1_171 Depth=1
	s_mov_b32 s12, exec_lo
	v_cmpx_lt_i32_e32 3, v4
	s_xor_b32 s12, exec_lo, s12
	s_cbranch_execz .LBB1_204
; %bb.195:                              ;   in Loop: Header=BB1_171 Depth=1
	s_mov_b32 s13, exec_lo
	v_cmpx_lt_i32_e32 7, v4
	s_xor_b32 s13, exec_lo, s13
	s_cbranch_execz .LBB1_199
; %bb.196:                              ;   in Loop: Header=BB1_171 Depth=1
	s_mov_b32 s14, exec_lo
	v_cmpx_eq_u32_e32 8, v4
; %bb.197:                              ;   in Loop: Header=BB1_171 Depth=1
	v_add_nc_u32_e32 v2, 1, v2
; %bb.198:                              ;   in Loop: Header=BB1_171 Depth=1
	s_or_b32 exec_lo, exec_lo, s14
.LBB1_199:                              ;   in Loop: Header=BB1_171 Depth=1
	s_and_not1_saveexec_b32 s13, s13
	s_cbranch_execz .LBB1_203
; %bb.200:                              ;   in Loop: Header=BB1_171 Depth=1
	s_mov_b32 s14, exec_lo
	v_cmpx_eq_u32_e32 4, v4
; %bb.201:                              ;   in Loop: Header=BB1_171 Depth=1
	v_dual_add_nc_u32 v3, -1, v3 :: v_dual_add_nc_u32 v2, 1, v2
; %bb.202:                              ;   in Loop: Header=BB1_171 Depth=1
	s_or_b32 exec_lo, exec_lo, s14
.LBB1_203:                              ;   in Loop: Header=BB1_171 Depth=1
	s_delay_alu instid0(SALU_CYCLE_1)
	s_or_b32 exec_lo, exec_lo, s13
.LBB1_204:                              ;   in Loop: Header=BB1_171 Depth=1
	s_and_not1_saveexec_b32 s12, s12
	s_cbranch_execz .LBB1_169
; %bb.205:                              ;   in Loop: Header=BB1_171 Depth=1
	s_mov_b32 s13, exec_lo
	v_cmpx_lt_i32_e32 1, v4
	s_xor_b32 s13, exec_lo, s13
	s_cbranch_execz .LBB1_209
; %bb.206:                              ;   in Loop: Header=BB1_171 Depth=1
	s_mov_b32 s14, exec_lo
	v_cmpx_eq_u32_e32 2, v4
; %bb.207:                              ;   in Loop: Header=BB1_171 Depth=1
	v_add_nc_u32_e32 v3, -1, v3
; %bb.208:                              ;   in Loop: Header=BB1_171 Depth=1
	s_or_b32 exec_lo, exec_lo, s14
.LBB1_209:                              ;   in Loop: Header=BB1_171 Depth=1
	s_and_not1_saveexec_b32 s13, s13
	s_cbranch_execz .LBB1_168
; %bb.210:                              ;   in Loop: Header=BB1_171 Depth=1
	s_mov_b32 s14, exec_lo
	v_cmpx_eq_u32_e32 1, v4
	s_cbranch_execz .LBB1_167
; %bb.211:                              ;   in Loop: Header=BB1_171 Depth=1
	v_dual_add_nc_u32 v3, -1, v3 :: v_dual_add_nc_u32 v2, -1, v2
	s_branch .LBB1_167
.LBB1_212:
	s_or_b32 exec_lo, exec_lo, s11
.LBB1_213:
	s_delay_alu instid0(SALU_CYCLE_1)
	s_or_b32 exec_lo, exec_lo, s7
	v_cmp_eq_u32_e32 vcc_lo, 16, v10
	v_dual_sub_nc_u32 v3, v14, v13 :: v_dual_sub_nc_u32 v4, v13, v14
	v_sub_nc_u32_e64 v7, v8, v6 clamp
	v_sub_nc_u32_e64 v6, v6, v8 clamp
	v_cndmask_b32_e64 v2, 0, 5, vcc_lo
	v_cmp_eq_u32_e32 vcc_lo, 64, v11
	s_mov_b32 s3, 0
	s_mov_b32 s2, exec_lo
	v_cndmask_b32_e64 v5, 0, 5, vcc_lo
	v_cmp_gt_i32_e32 vcc_lo, v14, v13
	v_cndmask_b32_e32 v3, 0, v3, vcc_lo
	v_cmp_lt_i32_e32 vcc_lo, v14, v13
	v_cndmask_b32_e32 v4, 0, v4, vcc_lo
	s_delay_alu instid0(VALU_DEP_3) | instskip(NEXT) | instid1(VALU_DEP_2)
	v_add3_u32 v3, v3, v5, v6
                                        ; implicit-def: $vgpr5
	v_add3_u32 v2, v4, v2, v7
	s_delay_alu instid0(VALU_DEP_1)
	v_cmpx_le_i32_e64 v2, v3
	s_xor_b32 s2, exec_lo, s2
	s_cbranch_execz .LBB1_217
; %bb.214:
	s_mov_b32 s3, -1
	s_mov_b32 s4, exec_lo
                                        ; implicit-def: $vgpr5
	v_cmpx_gt_i32_e64 v3, v2
	s_xor_b32 s4, exec_lo, s4
; %bb.215:
	v_and_b32_e32 v2, 0xffffff00, v10
	s_xor_b32 s3, exec_lo, -1
	s_delay_alu instid0(VALU_DEP_1)
	v_or3_b32 v5, v2, v12, 32
; %bb.216:
	s_or_b32 exec_lo, exec_lo, s4
	s_delay_alu instid0(SALU_CYCLE_1)
	s_and_b32 s3, s3, exec_lo
.LBB1_217:
	s_and_not1_saveexec_b32 s2, s2
; %bb.218:
	v_and_or_b32 v5, 0xffffff10, v10, v12
; %bb.219:
	s_or_b32 exec_lo, exec_lo, s2
	s_delay_alu instid0(SALU_CYCLE_1)
	s_and_b32 s12, s3, exec_lo
.LBB1_220:
	s_or_b32 exec_lo, exec_lo, s10
	s_delay_alu instid0(SALU_CYCLE_1)
	s_or_not1_b32 s2, s12, exec_lo
.LBB1_221:
	s_or_b32 exec_lo, exec_lo, s9
	v_mov_b32_e32 v6, 0
	s_mov_b32 s3, 0
	s_and_saveexec_b32 s4, s2
; %bb.222:
	v_dual_lshrrev_b32 v2, 1, v11 :: v_dual_bitop2_b32 v3, 16, v10 bitop3:0x40
	s_mov_b32 s3, exec_lo
	s_delay_alu instid0(VALU_DEP_1) | instskip(NEXT) | instid1(VALU_DEP_1)
	v_and_b32_e32 v2, 32, v2
	v_or3_b32 v6, v3, v2, v12
; %bb.223:
	s_or_b32 exec_lo, exec_lo, s4
	s_delay_alu instid0(SALU_CYCLE_1)
	s_or_not1_b32 s9, s3, exec_lo
	s_or_b32 exec_lo, exec_lo, s8
	s_load_b64 s[0:1], s[0:1], 0x8
	s_and_saveexec_b32 s2, s9
	s_cbranch_execz .LBB1_2
.LBB1_224:
	s_wait_loadcnt 0x0
	v_and_or_b32 v5, 0xffffff00, v10, v6
	s_or_b32 exec_lo, exec_lo, s2
	s_wait_kmcnt 0x0
	v_lshl_add_u64 v[0:1], v[0:1], 2, s[0:1]
	global_store_b32 v[0:1], v5, off
	s_endpgm
	.section	.rodata,"a",@progbits
	.p2align	6, 0x0
	.amdhsa_kernel _Z17eliminate_crossesPKjPjii
		.amdhsa_group_segment_fixed_size 0
		.amdhsa_private_segment_fixed_size 0
		.amdhsa_kernarg_size 280
		.amdhsa_user_sgpr_count 2
		.amdhsa_user_sgpr_dispatch_ptr 0
		.amdhsa_user_sgpr_queue_ptr 0
		.amdhsa_user_sgpr_kernarg_segment_ptr 1
		.amdhsa_user_sgpr_dispatch_id 0
		.amdhsa_user_sgpr_kernarg_preload_length 0
		.amdhsa_user_sgpr_kernarg_preload_offset 0
		.amdhsa_user_sgpr_private_segment_size 0
		.amdhsa_wavefront_size32 1
		.amdhsa_uses_dynamic_stack 0
		.amdhsa_enable_private_segment 0
		.amdhsa_system_sgpr_workgroup_id_x 1
		.amdhsa_system_sgpr_workgroup_id_y 0
		.amdhsa_system_sgpr_workgroup_id_z 0
		.amdhsa_system_sgpr_workgroup_info 0
		.amdhsa_system_vgpr_workitem_id 0
		.amdhsa_next_free_vgpr 35
		.amdhsa_next_free_sgpr 18
		.amdhsa_named_barrier_count 0
		.amdhsa_reserve_vcc 1
		.amdhsa_float_round_mode_32 0
		.amdhsa_float_round_mode_16_64 0
		.amdhsa_float_denorm_mode_32 3
		.amdhsa_float_denorm_mode_16_64 3
		.amdhsa_fp16_overflow 0
		.amdhsa_memory_ordered 1
		.amdhsa_forward_progress 1
		.amdhsa_inst_pref_size 34
		.amdhsa_round_robin_scheduling 0
		.amdhsa_exception_fp_ieee_invalid_op 0
		.amdhsa_exception_fp_denorm_src 0
		.amdhsa_exception_fp_ieee_div_zero 0
		.amdhsa_exception_fp_ieee_overflow 0
		.amdhsa_exception_fp_ieee_underflow 0
		.amdhsa_exception_fp_ieee_inexact 0
		.amdhsa_exception_int_div_zero 0
	.end_amdhsa_kernel
	.text
.Lfunc_end1:
	.size	_Z17eliminate_crossesPKjPjii, .Lfunc_end1-_Z17eliminate_crossesPKjPjii
                                        ; -- End function
	.set _Z17eliminate_crossesPKjPjii.num_vgpr, 35
	.set _Z17eliminate_crossesPKjPjii.num_agpr, 0
	.set _Z17eliminate_crossesPKjPjii.numbered_sgpr, 18
	.set _Z17eliminate_crossesPKjPjii.num_named_barrier, 0
	.set _Z17eliminate_crossesPKjPjii.private_seg_size, 0
	.set _Z17eliminate_crossesPKjPjii.uses_vcc, 1
	.set _Z17eliminate_crossesPKjPjii.uses_flat_scratch, 0
	.set _Z17eliminate_crossesPKjPjii.has_dyn_sized_stack, 0
	.set _Z17eliminate_crossesPKjPjii.has_recursion, 0
	.set _Z17eliminate_crossesPKjPjii.has_indirect_call, 0
	.section	.AMDGPU.csdata,"",@progbits
; Kernel info:
; codeLenInByte = 4228
; TotalNumSgprs: 20
; NumVgprs: 35
; ScratchSize: 0
; MemoryBound: 0
; FloatMode: 240
; IeeeMode: 1
; LDSByteSize: 0 bytes/workgroup (compile time only)
; SGPRBlocks: 0
; VGPRBlocks: 2
; NumSGPRsForWavesPerEU: 20
; NumVGPRsForWavesPerEU: 35
; NamedBarCnt: 0
; Occupancy: 16
; WaveLimiterHint : 0
; COMPUTE_PGM_RSRC2:SCRATCH_EN: 0
; COMPUTE_PGM_RSRC2:USER_SGPR: 2
; COMPUTE_PGM_RSRC2:TRAP_HANDLER: 0
; COMPUTE_PGM_RSRC2:TGID_X_EN: 1
; COMPUTE_PGM_RSRC2:TGID_Y_EN: 0
; COMPUTE_PGM_RSRC2:TGID_Z_EN: 0
; COMPUTE_PGM_RSRC2:TIDIG_COMP_CNT: 0
	.text
	.p2alignl 7, 3214868480
	.fill 96, 4, 3214868480
	.section	.AMDGPU.gpr_maximums,"",@progbits
	.set amdgpu.max_num_vgpr, 0
	.set amdgpu.max_num_agpr, 0
	.set amdgpu.max_num_sgpr, 0
	.text
	.type	__hip_cuid_78a8b220c1eaa288,@object ; @__hip_cuid_78a8b220c1eaa288
	.section	.bss,"aw",@nobits
	.globl	__hip_cuid_78a8b220c1eaa288
__hip_cuid_78a8b220c1eaa288:
	.byte	0                               ; 0x0
	.size	__hip_cuid_78a8b220c1eaa288, 1

	.ident	"AMD clang version 22.0.0git (https://github.com/RadeonOpenCompute/llvm-project roc-7.2.4 26084 f58b06dce1f9c15707c5f808fd002e18c2accf7e)"
	.section	".note.GNU-stack","",@progbits
	.addrsig
	.addrsig_sym __hip_cuid_78a8b220c1eaa288
	.amdgpu_metadata
---
amdhsa.kernels:
  - .args:
      - .actual_access:  read_only
        .address_space:  global
        .offset:         0
        .size:           8
        .value_kind:     global_buffer
      - .actual_access:  write_only
        .address_space:  global
        .offset:         8
        .size:           8
        .value_kind:     global_buffer
      - .offset:         16
        .size:           4
        .value_kind:     by_value
      - .offset:         20
        .size:           4
        .value_kind:     by_value
      - .offset:         24
        .size:           4
        .value_kind:     hidden_block_count_x
      - .offset:         28
        .size:           4
        .value_kind:     hidden_block_count_y
      - .offset:         32
        .size:           4
        .value_kind:     hidden_block_count_z
      - .offset:         36
        .size:           2
        .value_kind:     hidden_group_size_x
      - .offset:         38
        .size:           2
        .value_kind:     hidden_group_size_y
      - .offset:         40
        .size:           2
        .value_kind:     hidden_group_size_z
      - .offset:         42
        .size:           2
        .value_kind:     hidden_remainder_x
      - .offset:         44
        .size:           2
        .value_kind:     hidden_remainder_y
      - .offset:         46
        .size:           2
        .value_kind:     hidden_remainder_z
      - .offset:         64
        .size:           8
        .value_kind:     hidden_global_offset_x
      - .offset:         72
        .size:           8
        .value_kind:     hidden_global_offset_y
      - .offset:         80
        .size:           8
        .value_kind:     hidden_global_offset_z
      - .offset:         88
        .size:           2
        .value_kind:     hidden_grid_dims
    .group_segment_fixed_size: 0
    .kernarg_segment_align: 8
    .kernarg_segment_size: 280
    .language:       OpenCL C
    .language_version:
      - 2
      - 0
    .max_flat_workgroup_size: 1024
    .name:           _Z13check_connectPK15HIP_vector_typeIfLj3EEPjii
    .private_segment_fixed_size: 0
    .sgpr_count:     14
    .sgpr_spill_count: 0
    .symbol:         _Z13check_connectPK15HIP_vector_typeIfLj3EEPjii.kd
    .uniform_work_group_size: 1
    .uses_dynamic_stack: false
    .vgpr_count:     26
    .vgpr_spill_count: 0
    .wavefront_size: 32
  - .args:
      - .actual_access:  read_only
        .address_space:  global
        .offset:         0
        .size:           8
        .value_kind:     global_buffer
      - .actual_access:  write_only
        .address_space:  global
        .offset:         8
        .size:           8
        .value_kind:     global_buffer
      - .offset:         16
        .size:           4
        .value_kind:     by_value
      - .offset:         20
        .size:           4
        .value_kind:     by_value
      - .offset:         24
        .size:           4
        .value_kind:     hidden_block_count_x
      - .offset:         28
        .size:           4
        .value_kind:     hidden_block_count_y
      - .offset:         32
        .size:           4
        .value_kind:     hidden_block_count_z
      - .offset:         36
        .size:           2
        .value_kind:     hidden_group_size_x
      - .offset:         38
        .size:           2
        .value_kind:     hidden_group_size_y
      - .offset:         40
        .size:           2
        .value_kind:     hidden_group_size_z
      - .offset:         42
        .size:           2
        .value_kind:     hidden_remainder_x
      - .offset:         44
        .size:           2
        .value_kind:     hidden_remainder_y
      - .offset:         46
        .size:           2
        .value_kind:     hidden_remainder_z
      - .offset:         64
        .size:           8
        .value_kind:     hidden_global_offset_x
      - .offset:         72
        .size:           8
        .value_kind:     hidden_global_offset_y
      - .offset:         80
        .size:           8
        .value_kind:     hidden_global_offset_z
      - .offset:         88
        .size:           2
        .value_kind:     hidden_grid_dims
    .group_segment_fixed_size: 0
    .kernarg_segment_align: 8
    .kernarg_segment_size: 280
    .language:       OpenCL C
    .language_version:
      - 2
      - 0
    .max_flat_workgroup_size: 1024
    .name:           _Z17eliminate_crossesPKjPjii
    .private_segment_fixed_size: 0
    .sgpr_count:     20
    .sgpr_spill_count: 0
    .symbol:         _Z17eliminate_crossesPKjPjii.kd
    .uniform_work_group_size: 1
    .uses_dynamic_stack: false
    .vgpr_count:     35
    .vgpr_spill_count: 0
    .wavefront_size: 32
amdhsa.target:   amdgcn-amd-amdhsa--gfx1250
amdhsa.version:
  - 1
  - 2
...

	.end_amdgpu_metadata
